;; amdgpu-corpus repo=ROCm/hip-tests kind=compiled arch=gfx906 opt=O3
	.amdgcn_target "amdgcn-amd-amdhsa--gfx906"
	.amdhsa_code_object_version 6
	.text
	.protected	_Z11kernel_shflPiS_ii   ; -- Begin function _Z11kernel_shflPiS_ii
	.globl	_Z11kernel_shflPiS_ii
	.p2align	8
	.type	_Z11kernel_shflPiS_ii,@function
_Z11kernel_shflPiS_ii:                  ; @_Z11kernel_shflPiS_ii
; %bb.0:
	s_load_dwordx2 s[8:9], s[4:5], 0x10
	s_load_dword s0, s[4:5], 0x24
	s_mov_b32 s7, 0
	s_waitcnt lgkmcnt(0)
	s_abs_i32 s1, s9
	v_cvt_f32_u32_e32 v1, s1
	s_sub_i32 s2, 0, s1
	s_and_b32 s0, s0, 0xffff
	s_mul_i32 s6, s6, s0
	v_rcp_iflag_f32_e32 v1, v1
	v_add_u32_e32 v0, s6, v0
	v_sub_u32_e32 v3, 0, v0
	v_max_i32_e32 v3, v0, v3
	v_mul_f32_e32 v1, 0x4f7ffffe, v1
	v_cvt_u32_f32_e32 v1, v1
	v_ashrrev_i32_e32 v0, 31, v0
	v_mul_lo_u32 v2, s2, v1
	v_mul_hi_u32 v2, v1, v2
	v_add_u32_e32 v1, v1, v2
	v_mul_hi_u32 v1, v3, v1
	v_mul_lo_u32 v1, v1, s1
	v_sub_u32_e32 v1, v3, v1
	v_subrev_u32_e32 v2, s1, v1
	v_cmp_le_u32_e32 vcc, s1, v1
	v_cndmask_b32_e32 v1, v1, v2, vcc
	v_subrev_u32_e32 v2, s1, v1
	v_cmp_le_u32_e32 vcc, s1, v1
	v_cndmask_b32_e32 v1, v1, v2, vcc
	v_xor_b32_e32 v1, v1, v0
	v_sub_u32_e32 v0, v1, v0
	v_cmp_eq_u32_e32 vcc, 0, v0
	s_and_saveexec_b64 s[0:1], vcc
	s_cbranch_execz .LBB0_11
; %bb.1:
	s_load_dwordx4 s[0:3], s[4:5], 0x0
	v_mbcnt_lo_u32_b32 v0, exec_lo, 0
	v_mbcnt_hi_u32_b32 v0, exec_hi, v0
	v_lshlrev_b32_e32 v0, 2, v0
	s_bcnt1_i32_b64 s6, exec
	s_waitcnt lgkmcnt(0)
	global_load_dword v1, v0, s[0:1]
	s_flbit_i32_b32 s0, 0
	s_min_u32 s4, s0, 32
	s_lshl_b64 s[0:1], s[6:7], s4
	s_min_u32 s0, s0, 1
	s_or_b32 s0, s1, s0
	v_cvt_f32_u32_e32 v2, s0
	s_sub_i32 s0, 32, s4
	s_sub_i32 s4, 0, s6
	s_abs_i32 s1, s8
	v_ldexp_f32 v2, v2, s0
	v_rcp_f32_e32 v2, v2
	s_ashr_i32 s0, s8, 31
	v_mul_f32_e32 v2, 0x4f7ffffe, v2
	v_cvt_u32_f32_e32 v2, v2
	v_readfirstlane_b32 s5, v2
	s_mul_i32 s4, s4, s5
	s_mul_hi_u32 s4, s5, s4
	s_add_i32 s5, s5, s4
	s_mul_hi_u32 s4, s1, s5
	s_mul_i32 s4, s4, s6
	s_sub_i32 s1, s1, s4
	s_sub_i32 s4, s1, s6
	s_cmp_ge_u32 s1, s6
	s_cselect_b32 s1, s4, s1
	s_sub_i32 s4, s1, s6
	s_cmp_ge_u32 s1, s6
	s_cselect_b32 s1, s4, s1
	s_xor_b32 s1, s1, s0
	s_sub_i32 s8, s1, s0
	s_mov_b64 s[4:5], -1
	s_cmp_eq_u64 exec, -1
	v_mov_b32_e32 v2, s8
	s_cbranch_scc1 .LBB0_10
; %bb.2:
	v_add_co_u32_e64 v2, s[0:1], s8, 1
	s_andn2_b64 vcc, exec, s[0:1]
	v_readfirstlane_b32 s9, v2
	s_cbranch_vccz .LBB0_5
; %bb.3:
	s_mov_b64 s[0:1], exec
	s_mov_b64 s[4:5], 0
	s_cmp_gt_i32 s8, -2
	s_mov_b64 s[6:7], 0
	s_cbranch_scc1 .LBB0_6
; %bb.4:
	s_not_b32 s9, s8
	s_brev_b64 s[0:1], exec
	s_mov_b64 s[6:7], 63
	s_branch .LBB0_6
.LBB0_5:
                                        ; implicit-def: $sgpr6_sgpr7
                                        ; implicit-def: $sgpr9
                                        ; implicit-def: $sgpr0_sgpr1
.LBB0_6:
	s_andn2_b64 vcc, exec, s[4:5]
	s_cbranch_vccnz .LBB0_8
; %bb.7:
	s_and_b32 s0, exec_lo, 1
	s_mov_b32 s1, 0
	s_mov_b64 s[6:7], 0
	s_mov_b32 s9, 1
.LBB0_8:
	s_lshl_b64 s[4:5], -1, s6
	s_and_b64 s[0:1], s[4:5], s[0:1]
	s_bcnt1_i32_b64 s4, s[0:1]
	s_cmp_gt_u32 s9, s4
	v_mov_b32_e32 v2, -1
	s_cbranch_scc1 .LBB0_10
; %bb.9:
	s_bcnt1_i32_b32 s4, s0
	s_cmp_gt_u32 s9, s4
	s_cselect_b32 s0, s1, s0
	s_cselect_b32 s1, s4, 0
	;; [unrolled: 1-line block ×3, first 2 shown]
	s_and_b32 s5, s0, 0xffff
	s_sub_i32 s1, s9, s1
	s_bcnt1_i32_b32 s6, s5
	s_lshr_b32 s0, s0, 16
	s_cmp_gt_i32 s1, s6
	s_cselect_b32 s0, s0, s5
	s_cselect_b32 s5, s6, 0
	s_cselect_b32 s6, 16, 0
	s_sub_i32 s1, s1, s5
	s_and_b32 s5, s0, 0xff
	s_or_b32 s4, s6, s4
	s_bcnt1_i32_b32 s6, s5
	s_lshr_b32 s0, s0, 8
	s_cmp_gt_i32 s1, s6
	s_cselect_b32 s0, s0, s5
	s_cselect_b32 s5, s6, 0
	s_cselect_b32 s6, 8, 0
	s_sub_i32 s1, s1, s5
	s_and_b32 s5, s0, 15
	s_or_b32 s4, s4, s6
	;; [unrolled: 9-line block ×3, first 2 shown]
	s_bcnt1_i32_b32 s5, s5
	s_lshr_b32 s6, s0, 2
	s_cmp_gt_i32 s1, s5
	s_cselect_b32 s5, s5, 0
	s_cselect_b32 s7, 2, 0
	;; [unrolled: 1-line block ×3, first 2 shown]
	s_sub_i32 s1, s1, s5
	s_or_b32 s4, s4, s7
	s_and_b32 s0, s0, 1
	s_cmp_gt_i32 s1, s0
	s_cselect_b64 s[0:1], -1, 0
	v_cndmask_b32_e64 v2, 0, 1, s[0:1]
	v_or_b32_e32 v2, s4, v2
	s_cmp_lt_i32 s8, -1
	v_xor_b32_e32 v3, 63, v2
	s_cselect_b64 vcc, -1, 0
	v_cndmask_b32_e32 v2, v2, v3, vcc
.LBB0_10:
	v_mbcnt_lo_u32_b32 v3, -1, 0
	v_mbcnt_hi_u32_b32 v3, -1, v3
	v_and_b32_e32 v2, 63, v2
	v_and_or_b32 v2, v3, 64, v2
	v_lshlrev_b32_e32 v2, 2, v2
	s_waitcnt vmcnt(0)
	ds_bpermute_b32 v1, v2, v1
	s_waitcnt lgkmcnt(0)
	global_store_dword v0, v1, s[2:3]
.LBB0_11:
	s_endpgm
	.section	.rodata,"a",@progbits
	.p2align	6, 0x0
	.amdhsa_kernel _Z11kernel_shflPiS_ii
		.amdhsa_group_segment_fixed_size 0
		.amdhsa_private_segment_fixed_size 0
		.amdhsa_kernarg_size 280
		.amdhsa_user_sgpr_count 6
		.amdhsa_user_sgpr_private_segment_buffer 1
		.amdhsa_user_sgpr_dispatch_ptr 0
		.amdhsa_user_sgpr_queue_ptr 0
		.amdhsa_user_sgpr_kernarg_segment_ptr 1
		.amdhsa_user_sgpr_dispatch_id 0
		.amdhsa_user_sgpr_flat_scratch_init 0
		.amdhsa_user_sgpr_private_segment_size 0
		.amdhsa_uses_dynamic_stack 0
		.amdhsa_system_sgpr_private_segment_wavefront_offset 0
		.amdhsa_system_sgpr_workgroup_id_x 1
		.amdhsa_system_sgpr_workgroup_id_y 0
		.amdhsa_system_sgpr_workgroup_id_z 0
		.amdhsa_system_sgpr_workgroup_info 0
		.amdhsa_system_vgpr_workitem_id 0
		.amdhsa_next_free_vgpr 4
		.amdhsa_next_free_sgpr 10
		.amdhsa_reserve_vcc 1
		.amdhsa_reserve_flat_scratch 0
		.amdhsa_float_round_mode_32 0
		.amdhsa_float_round_mode_16_64 0
		.amdhsa_float_denorm_mode_32 3
		.amdhsa_float_denorm_mode_16_64 3
		.amdhsa_dx10_clamp 1
		.amdhsa_ieee_mode 1
		.amdhsa_fp16_overflow 0
		.amdhsa_exception_fp_ieee_invalid_op 0
		.amdhsa_exception_fp_denorm_src 0
		.amdhsa_exception_fp_ieee_div_zero 0
		.amdhsa_exception_fp_ieee_overflow 0
		.amdhsa_exception_fp_ieee_underflow 0
		.amdhsa_exception_fp_ieee_inexact 0
		.amdhsa_exception_int_div_zero 0
	.end_amdhsa_kernel
	.text
.Lfunc_end0:
	.size	_Z11kernel_shflPiS_ii, .Lfunc_end0-_Z11kernel_shflPiS_ii
                                        ; -- End function
	.set _Z11kernel_shflPiS_ii.num_vgpr, 4
	.set _Z11kernel_shflPiS_ii.num_agpr, 0
	.set _Z11kernel_shflPiS_ii.numbered_sgpr, 10
	.set _Z11kernel_shflPiS_ii.num_named_barrier, 0
	.set _Z11kernel_shflPiS_ii.private_seg_size, 0
	.set _Z11kernel_shflPiS_ii.uses_vcc, 1
	.set _Z11kernel_shflPiS_ii.uses_flat_scratch, 0
	.set _Z11kernel_shflPiS_ii.has_dyn_sized_stack, 0
	.set _Z11kernel_shflPiS_ii.has_recursion, 0
	.set _Z11kernel_shflPiS_ii.has_indirect_call, 0
	.section	.AMDGPU.csdata,"",@progbits
; Kernel info:
; codeLenInByte = 728
; TotalNumSgprs: 14
; NumVgprs: 4
; ScratchSize: 0
; MemoryBound: 0
; FloatMode: 240
; IeeeMode: 1
; LDSByteSize: 0 bytes/workgroup (compile time only)
; SGPRBlocks: 1
; VGPRBlocks: 0
; NumSGPRsForWavesPerEU: 14
; NumVGPRsForWavesPerEU: 4
; Occupancy: 10
; WaveLimiterHint : 0
; COMPUTE_PGM_RSRC2:SCRATCH_EN: 0
; COMPUTE_PGM_RSRC2:USER_SGPR: 6
; COMPUTE_PGM_RSRC2:TRAP_HANDLER: 0
; COMPUTE_PGM_RSRC2:TGID_X_EN: 1
; COMPUTE_PGM_RSRC2:TGID_Y_EN: 0
; COMPUTE_PGM_RSRC2:TGID_Z_EN: 0
; COMPUTE_PGM_RSRC2:TIDIG_COMP_CNT: 0
	.text
	.protected	_Z22kernel_shfl_any_to_anyPiS_S_i ; -- Begin function _Z22kernel_shfl_any_to_anyPiS_S_i
	.globl	_Z22kernel_shfl_any_to_anyPiS_S_i
	.p2align	8
	.type	_Z22kernel_shfl_any_to_anyPiS_S_i,@function
_Z22kernel_shfl_any_to_anyPiS_S_i:      ; @_Z22kernel_shfl_any_to_anyPiS_S_i
; %bb.0:
	s_load_dword s0, s[4:5], 0x18
	s_load_dword s1, s[4:5], 0x2c
	s_mov_b32 s7, 0
	s_waitcnt lgkmcnt(0)
	s_abs_i32 s0, s0
	v_cvt_f32_u32_e32 v1, s0
	s_sub_i32 s2, 0, s0
	s_and_b32 s1, s1, 0xffff
	s_mul_i32 s6, s6, s1
	v_rcp_iflag_f32_e32 v1, v1
	v_add_u32_e32 v0, s6, v0
	v_sub_u32_e32 v3, 0, v0
	v_max_i32_e32 v3, v0, v3
	v_mul_f32_e32 v1, 0x4f7ffffe, v1
	v_cvt_u32_f32_e32 v1, v1
	v_ashrrev_i32_e32 v0, 31, v0
	v_mul_lo_u32 v2, s2, v1
	v_mul_hi_u32 v2, v1, v2
	v_add_u32_e32 v1, v1, v2
	v_mul_hi_u32 v1, v3, v1
	v_mul_lo_u32 v1, v1, s0
	v_sub_u32_e32 v1, v3, v1
	v_subrev_u32_e32 v2, s0, v1
	v_cmp_le_u32_e32 vcc, s0, v1
	v_cndmask_b32_e32 v1, v1, v2, vcc
	v_subrev_u32_e32 v2, s0, v1
	v_cmp_le_u32_e32 vcc, s0, v1
	v_cndmask_b32_e32 v1, v1, v2, vcc
	v_xor_b32_e32 v1, v1, v0
	v_sub_u32_e32 v0, v1, v0
	v_cmp_eq_u32_e32 vcc, 0, v0
	s_and_saveexec_b64 s[0:1], vcc
	s_cbranch_execz .LBB1_12
; %bb.1:
	s_mov_b64 s[2:3], exec
	s_load_dwordx4 s[8:11], s[4:5], 0x0
	s_load_dwordx2 s[0:1], s[4:5], 0x10
	v_mbcnt_lo_u32_b32 v0, s2, 0
	v_mbcnt_hi_u32_b32 v0, s3, v0
	v_lshlrev_b32_e32 v3, 2, v0
	s_waitcnt lgkmcnt(0)
	global_load_dword v0, v3, s[10:11]
	global_load_dword v4, v3, s[8:9]
	s_flbit_i32_b32 s4, 0
	s_bcnt1_i32_b64 s6, s[2:3]
	s_min_u32 s8, s4, 32
	s_lshl_b64 s[4:5], s[6:7], s8
	s_min_u32 s4, s4, 1
	s_or_b32 s4, s5, s4
	v_cvt_f32_u32_e32 v1, s4
	s_sub_i32 s4, 32, s8
	v_ldexp_f32 v1, v1, s4
	v_rcp_f32_e32 v1, v1
	s_sub_i32 s4, 0, s6
	s_cmp_eq_u64 s[2:3], -1
	v_mul_f32_e32 v1, 0x4f7ffffe, v1
	v_cvt_u32_f32_e32 v1, v1
	v_mul_lo_u32 v2, s4, v1
	v_mul_hi_u32 v2, v1, v2
	v_add_u32_e32 v1, v1, v2
	s_waitcnt vmcnt(1)
	v_sub_u32_e32 v2, 0, v0
	v_max_i32_e32 v2, v0, v2
	v_mul_hi_u32 v1, v2, v1
	v_ashrrev_i32_e32 v0, 31, v0
	v_mul_lo_u32 v1, v1, s6
	v_sub_u32_e32 v1, v2, v1
	v_subrev_u32_e32 v2, s6, v1
	v_cmp_le_u32_e32 vcc, s6, v1
	v_cndmask_b32_e32 v1, v1, v2, vcc
	v_subrev_u32_e32 v2, s6, v1
	v_cmp_le_u32_e32 vcc, s6, v1
	v_cndmask_b32_e32 v1, v1, v2, vcc
	v_xor_b32_e32 v1, v1, v0
	v_sub_u32_e32 v5, v1, v0
	s_cbranch_scc1 .LBB1_11
; %bb.2:
	v_add_co_u32_e32 v6, vcc, 1, v5
	s_xor_b64 s[4:5], vcc, -1
                                        ; implicit-def: $vgpr0_vgpr1
                                        ; implicit-def: $vgpr1_vgpr2
	s_and_saveexec_b64 s[6:7], s[4:5]
	s_xor_b64 s[4:5], exec, s[6:7]
	s_cbranch_execz .LBB1_6
; %bb.3:
	v_mov_b32_e32 v0, 0
	v_mov_b32_e32 v1, 0
	;; [unrolled: 1-line block ×3, first 2 shown]
	v_cmp_gt_i32_e32 vcc, -1, v5
	v_mov_b32_e32 v2, s3
	s_and_saveexec_b64 s[6:7], vcc
; %bb.4:
	v_mov_b32_e32 v0, 63
	s_brev_b64 s[8:9], s[2:3]
	v_mov_b32_e32 v1, 0
	v_mov_b32_e32 v1, s8
	v_not_b32_e32 v6, v5
	v_mov_b32_e32 v2, s9
; %bb.5:
	s_or_b64 exec, exec, s[6:7]
.LBB1_6:
	s_andn2_saveexec_b64 s[4:5], s[4:5]
; %bb.7:
	v_mov_b32_e32 v0, 0
	s_and_b32 s2, s2, 1
	v_mov_b32_e32 v1, 0
	s_mov_b32 s3, 0
	v_mov_b32_e32 v1, s2
	v_mov_b32_e32 v6, 1
	;; [unrolled: 1-line block ×3, first 2 shown]
; %bb.8:
	s_or_b64 exec, exec, s[4:5]
	v_lshlrev_b64 v[7:8], v0, -1
	v_and_b32_e32 v1, v7, v1
	v_and_b32_e32 v0, v8, v2
	v_bcnt_u32_b32 v2, v1, 0
	v_bcnt_u32_b32 v2, v0, v2
	v_cmp_le_u32_e32 vcc, v6, v2
	v_mov_b32_e32 v2, -1
	s_and_saveexec_b64 s[2:3], vcc
	s_cbranch_execz .LBB1_10
; %bb.9:
	v_bcnt_u32_b32 v2, v1, 0
	v_cmp_gt_u32_e32 vcc, v6, v2
	v_cndmask_b32_e32 v0, v1, v0, vcc
	v_cndmask_b32_e32 v1, 0, v2, vcc
	v_sub_u32_e32 v1, v6, v1
	v_and_b32_e32 v6, 0xffff, v0
	v_bcnt_u32_b32 v7, v6, 0
	v_cndmask_b32_e64 v2, 0, 32, vcc
	v_lshrrev_b32_e32 v0, 16, v0
	v_cmp_gt_i32_e32 vcc, v1, v7
	v_cndmask_b32_e32 v0, v6, v0, vcc
	v_cndmask_b32_e32 v6, 0, v7, vcc
	v_sub_u32_e32 v1, v1, v6
	v_cndmask_b32_e64 v6, 0, 16, vcc
	v_or_b32_e32 v2, v6, v2
	v_and_b32_e32 v6, 0xff, v0
	v_bcnt_u32_b32 v7, v6, 0
	v_lshrrev_b32_e32 v0, 8, v0
	v_cmp_gt_i32_e32 vcc, v1, v7
	v_cndmask_b32_e32 v0, v6, v0, vcc
	v_cndmask_b32_e32 v6, 0, v7, vcc
	v_and_b32_e32 v7, 15, v0
	v_sub_u32_e32 v1, v1, v6
	v_bcnt_u32_b32 v8, v7, 0
	v_cndmask_b32_e64 v6, 0, 8, vcc
	v_lshrrev_b32_e32 v0, 4, v0
	v_cmp_gt_i32_e32 vcc, v1, v8
	v_cndmask_b32_e32 v0, v7, v0, vcc
	v_cndmask_b32_e32 v7, 0, v8, vcc
	v_sub_u32_e32 v1, v1, v7
	v_cndmask_b32_e64 v7, 0, 4, vcc
	v_or3_b32 v2, v2, v6, v7
	v_and_b32_e32 v6, 3, v0
	v_bcnt_u32_b32 v6, v6, 0
	v_lshrrev_b32_e32 v7, 2, v0
	v_cmp_gt_i32_e32 vcc, v1, v6
	v_cndmask_b32_e32 v6, 0, v6, vcc
	v_cndmask_b32_e32 v0, v0, v7, vcc
	v_sub_u32_e32 v1, v1, v6
	v_and_b32_e32 v0, 1, v0
	v_cndmask_b32_e64 v6, 0, 2, vcc
	v_cmp_gt_i32_e32 vcc, v1, v0
	v_cndmask_b32_e64 v0, 0, 1, vcc
	v_or3_b32 v0, v2, v6, v0
	v_xor_b32_e32 v1, 63, v0
	v_cmp_gt_i32_e32 vcc, -1, v5
	v_cndmask_b32_e32 v2, v0, v1, vcc
.LBB1_10:
	s_or_b64 exec, exec, s[2:3]
	v_mov_b32_e32 v5, v2
.LBB1_11:
	v_mbcnt_lo_u32_b32 v0, -1, 0
	v_mbcnt_hi_u32_b32 v0, -1, v0
	v_and_b32_e32 v1, 63, v5
	v_and_or_b32 v0, v0, 64, v1
	v_lshlrev_b32_e32 v0, 2, v0
	s_waitcnt vmcnt(0)
	ds_bpermute_b32 v0, v0, v4
	s_waitcnt lgkmcnt(0)
	global_store_dword v3, v0, s[0:1]
.LBB1_12:
	s_endpgm
	.section	.rodata,"a",@progbits
	.p2align	6, 0x0
	.amdhsa_kernel _Z22kernel_shfl_any_to_anyPiS_S_i
		.amdhsa_group_segment_fixed_size 0
		.amdhsa_private_segment_fixed_size 0
		.amdhsa_kernarg_size 288
		.amdhsa_user_sgpr_count 6
		.amdhsa_user_sgpr_private_segment_buffer 1
		.amdhsa_user_sgpr_dispatch_ptr 0
		.amdhsa_user_sgpr_queue_ptr 0
		.amdhsa_user_sgpr_kernarg_segment_ptr 1
		.amdhsa_user_sgpr_dispatch_id 0
		.amdhsa_user_sgpr_flat_scratch_init 0
		.amdhsa_user_sgpr_private_segment_size 0
		.amdhsa_uses_dynamic_stack 0
		.amdhsa_system_sgpr_private_segment_wavefront_offset 0
		.amdhsa_system_sgpr_workgroup_id_x 1
		.amdhsa_system_sgpr_workgroup_id_y 0
		.amdhsa_system_sgpr_workgroup_id_z 0
		.amdhsa_system_sgpr_workgroup_info 0
		.amdhsa_system_vgpr_workitem_id 0
		.amdhsa_next_free_vgpr 9
		.amdhsa_next_free_sgpr 12
		.amdhsa_reserve_vcc 1
		.amdhsa_reserve_flat_scratch 0
		.amdhsa_float_round_mode_32 0
		.amdhsa_float_round_mode_16_64 0
		.amdhsa_float_denorm_mode_32 3
		.amdhsa_float_denorm_mode_16_64 3
		.amdhsa_dx10_clamp 1
		.amdhsa_ieee_mode 1
		.amdhsa_fp16_overflow 0
		.amdhsa_exception_fp_ieee_invalid_op 0
		.amdhsa_exception_fp_denorm_src 0
		.amdhsa_exception_fp_ieee_div_zero 0
		.amdhsa_exception_fp_ieee_overflow 0
		.amdhsa_exception_fp_ieee_underflow 0
		.amdhsa_exception_fp_ieee_inexact 0
		.amdhsa_exception_int_div_zero 0
	.end_amdhsa_kernel
	.text
.Lfunc_end1:
	.size	_Z22kernel_shfl_any_to_anyPiS_S_i, .Lfunc_end1-_Z22kernel_shfl_any_to_anyPiS_S_i
                                        ; -- End function
	.set _Z22kernel_shfl_any_to_anyPiS_S_i.num_vgpr, 9
	.set _Z22kernel_shfl_any_to_anyPiS_S_i.num_agpr, 0
	.set _Z22kernel_shfl_any_to_anyPiS_S_i.numbered_sgpr, 12
	.set _Z22kernel_shfl_any_to_anyPiS_S_i.num_named_barrier, 0
	.set _Z22kernel_shfl_any_to_anyPiS_S_i.private_seg_size, 0
	.set _Z22kernel_shfl_any_to_anyPiS_S_i.uses_vcc, 1
	.set _Z22kernel_shfl_any_to_anyPiS_S_i.uses_flat_scratch, 0
	.set _Z22kernel_shfl_any_to_anyPiS_S_i.has_dyn_sized_stack, 0
	.set _Z22kernel_shfl_any_to_anyPiS_S_i.has_recursion, 0
	.set _Z22kernel_shfl_any_to_anyPiS_S_i.has_indirect_call, 0
	.section	.AMDGPU.csdata,"",@progbits
; Kernel info:
; codeLenInByte = 852
; TotalNumSgprs: 16
; NumVgprs: 9
; ScratchSize: 0
; MemoryBound: 0
; FloatMode: 240
; IeeeMode: 1
; LDSByteSize: 0 bytes/workgroup (compile time only)
; SGPRBlocks: 1
; VGPRBlocks: 2
; NumSGPRsForWavesPerEU: 16
; NumVGPRsForWavesPerEU: 9
; Occupancy: 10
; WaveLimiterHint : 0
; COMPUTE_PGM_RSRC2:SCRATCH_EN: 0
; COMPUTE_PGM_RSRC2:USER_SGPR: 6
; COMPUTE_PGM_RSRC2:TRAP_HANDLER: 0
; COMPUTE_PGM_RSRC2:TGID_X_EN: 1
; COMPUTE_PGM_RSRC2:TGID_Y_EN: 0
; COMPUTE_PGM_RSRC2:TGID_Z_EN: 0
; COMPUTE_PGM_RSRC2:TIDIG_COMP_CNT: 0
	.text
	.protected	_Z10filter_arrPiS_PKii  ; -- Begin function _Z10filter_arrPiS_PKii
	.globl	_Z10filter_arrPiS_PKii
	.p2align	8
	.type	_Z10filter_arrPiS_PKii,@function
_Z10filter_arrPiS_PKii:                 ; @_Z10filter_arrPiS_PKii
; %bb.0:
	s_load_dword s0, s[4:5], 0x2c
	s_load_dword s20, s[4:5], 0x18
	s_add_u32 s8, s4, 32
	s_addc_u32 s9, s5, 0
	s_waitcnt lgkmcnt(0)
	s_and_b32 s10, s0, 0xffff
	s_mul_i32 s6, s6, s10
	v_add_u32_e32 v0, s6, v0
	v_cmp_gt_i32_e32 vcc, s20, v0
	s_and_saveexec_b64 s[0:1], vcc
	s_cbranch_execz .LBB2_17
; %bb.1:
	s_load_dword s21, s[8:9], 0x0
	s_load_dwordx2 s[6:7], s[4:5], 0x10
	s_load_dwordx4 s[0:3], s[4:5], 0x0
	v_mbcnt_lo_u32_b32 v1, -1, 0
	v_mbcnt_hi_u32_b32 v1, -1, v1
	s_mov_b64 s[4:5], 0
	s_waitcnt lgkmcnt(0)
	s_mul_i32 s21, s21, s10
	v_mov_b32_e32 v2, s7
	s_mov_b32 s9, 0
	v_mov_b32_e32 v3, 0
	v_and_b32_e32 v4, 64, v1
	s_branch .LBB2_4
.LBB2_2:                                ;   in Loop: Header=BB2_4 Depth=1
	v_add_lshl_u32 v7, v4, s8, 2
	ds_bpermute_b32 v6, v7, v6
	v_mov_b32_e32 v7, s1
	s_waitcnt lgkmcnt(0)
	v_add_u32_e32 v5, v6, v5
	v_ashrrev_i32_e32 v6, 31, v5
	v_lshlrev_b64 v[5:6], 2, v[5:6]
	v_add_co_u32_e32 v5, vcc, s0, v5
	v_addc_co_u32_e32 v6, vcc, v7, v6, vcc
	global_store_dword v[5:6], v1, off
.LBB2_3:                                ;   in Loop: Header=BB2_4 Depth=1
	s_or_b64 exec, exec, s[10:11]
	v_add_u32_e32 v0, s21, v0
	v_cmp_le_i32_e32 vcc, s20, v0
	s_or_b64 s[4:5], vcc, s[4:5]
	s_andn2_b64 exec, exec, s[4:5]
	s_cbranch_execz .LBB2_17
.LBB2_4:                                ; =>This Inner Loop Header: Depth=1
	v_ashrrev_i32_e32 v1, 31, v0
	v_lshlrev_b64 v[5:6], 2, v[0:1]
	v_add_co_u32_e32 v5, vcc, s6, v5
	v_addc_co_u32_e32 v6, vcc, v2, v6, vcc
	global_load_dword v1, v[5:6], off
	s_waitcnt vmcnt(0)
	v_cmp_lt_i32_e32 vcc, 0, v1
	s_and_saveexec_b64 s[10:11], vcc
	s_cbranch_execz .LBB2_3
; %bb.5:                                ;   in Loop: Header=BB2_4 Depth=1
	s_mov_b64 s[12:13], exec
	v_mbcnt_lo_u32_b32 v5, s12, 0
	v_mbcnt_hi_u32_b32 v5, s13, v5
	v_cmp_eq_u32_e32 vcc, 0, v5
	v_mov_b32_e32 v6, 0
	s_and_saveexec_b64 s[14:15], vcc
	s_cbranch_execz .LBB2_9
; %bb.6:                                ;   in Loop: Header=BB2_4 Depth=1
	s_mov_b64 s[18:19], exec
	v_mbcnt_lo_u32_b32 v6, s18, 0
	v_mbcnt_hi_u32_b32 v6, s19, v6
	s_bcnt1_i32_b64 s7, s[12:13]
	v_cmp_eq_u32_e32 vcc, 0, v6
                                        ; implicit-def: $vgpr7
	s_and_saveexec_b64 s[16:17], vcc
	s_cbranch_execz .LBB2_8
; %bb.7:                                ;   in Loop: Header=BB2_4 Depth=1
	s_bcnt1_i32_b64 s8, s[18:19]
	s_mul_i32 s8, s7, s8
	v_mov_b32_e32 v7, s8
	global_atomic_add v7, v3, v7, s[2:3] glc
.LBB2_8:                                ;   in Loop: Header=BB2_4 Depth=1
	s_or_b64 exec, exec, s[16:17]
	s_waitcnt vmcnt(0)
	v_readfirstlane_b32 s8, v7
	v_mov_b32_e32 v7, s8
	v_mad_u32_u24 v6, s7, v6, v7
.LBB2_9:                                ;   in Loop: Header=BB2_4 Depth=1
	s_or_b64 exec, exec, s[14:15]
	v_cmp_lt_i64_e64 s[14:15], s[12:13], 0
	s_mov_b32 s7, s13
	s_and_b64 vcc, exec, s[14:15]
	s_cbranch_vccnz .LBB2_13
; %bb.10:                               ;   in Loop: Header=BB2_4 Depth=1
	s_cmp_eq_u64 s[12:13], 0
	s_mov_b64 s[14:15], -1
	s_cbranch_scc0 .LBB2_12
; %bb.11:                               ;   in Loop: Header=BB2_4 Depth=1
	s_mov_b64 s[14:15], 0
.LBB2_12:                               ;   in Loop: Header=BB2_4 Depth=1
	s_mov_b32 s8, 63
	s_branch .LBB2_15
.LBB2_13:                               ;   in Loop: Header=BB2_4 Depth=1
	s_mov_b64 s[14:15], 0
	s_mov_b32 s8, 63
	s_cbranch_execz .LBB2_15
; %bb.14:                               ;   in Loop: Header=BB2_4 Depth=1
	s_cmp_lg_u64 s[12:13], -1
	s_mov_b32 s8, 0
	s_cselect_b64 s[14:15], -1, 0
.LBB2_15:                               ;   in Loop: Header=BB2_4 Depth=1
	s_andn2_b64 vcc, exec, s[14:15]
	s_cbranch_vccnz .LBB2_2
; %bb.16:                               ;   in Loop: Header=BB2_4 Depth=1
	s_mov_b32 s13, s9
	s_cmp_eq_u64 s[12:13], 0
	s_cselect_b32 s7, s7, s12
	s_cselect_b32 s12, 32, 0
	s_and_b32 s8, s7, 0xffff
	s_lshr_b32 s7, s7, 16
	s_cmp_eq_u64 s[8:9], 0
	s_cselect_b32 s7, s7, s8
	s_cselect_b32 s8, 16, 0
	s_or_b32 s12, s8, s12
	s_and_b32 s8, s7, 0xff
	s_lshr_b32 s7, s7, 8
	s_cmp_eq_u64 s[8:9], 0
	s_cselect_b32 s7, s7, s8
	s_cselect_b32 s8, 8, 0
	s_or_b32 s12, s12, s8
	;; [unrolled: 6-line block ×4, first 2 shown]
	s_and_b32 s7, s7, 1
	s_or_b32 s7, s8, s7
	s_xor_b32 s8, s7, 1
	s_branch .LBB2_2
.LBB2_17:
	s_endpgm
	.section	.rodata,"a",@progbits
	.p2align	6, 0x0
	.amdhsa_kernel _Z10filter_arrPiS_PKii
		.amdhsa_group_segment_fixed_size 0
		.amdhsa_private_segment_fixed_size 0
		.amdhsa_kernarg_size 288
		.amdhsa_user_sgpr_count 6
		.amdhsa_user_sgpr_private_segment_buffer 1
		.amdhsa_user_sgpr_dispatch_ptr 0
		.amdhsa_user_sgpr_queue_ptr 0
		.amdhsa_user_sgpr_kernarg_segment_ptr 1
		.amdhsa_user_sgpr_dispatch_id 0
		.amdhsa_user_sgpr_flat_scratch_init 0
		.amdhsa_user_sgpr_private_segment_size 0
		.amdhsa_uses_dynamic_stack 0
		.amdhsa_system_sgpr_private_segment_wavefront_offset 0
		.amdhsa_system_sgpr_workgroup_id_x 1
		.amdhsa_system_sgpr_workgroup_id_y 0
		.amdhsa_system_sgpr_workgroup_id_z 0
		.amdhsa_system_sgpr_workgroup_info 0
		.amdhsa_system_vgpr_workitem_id 0
		.amdhsa_next_free_vgpr 8
		.amdhsa_next_free_sgpr 22
		.amdhsa_reserve_vcc 1
		.amdhsa_reserve_flat_scratch 0
		.amdhsa_float_round_mode_32 0
		.amdhsa_float_round_mode_16_64 0
		.amdhsa_float_denorm_mode_32 3
		.amdhsa_float_denorm_mode_16_64 3
		.amdhsa_dx10_clamp 1
		.amdhsa_ieee_mode 1
		.amdhsa_fp16_overflow 0
		.amdhsa_exception_fp_ieee_invalid_op 0
		.amdhsa_exception_fp_denorm_src 0
		.amdhsa_exception_fp_ieee_div_zero 0
		.amdhsa_exception_fp_ieee_overflow 0
		.amdhsa_exception_fp_ieee_underflow 0
		.amdhsa_exception_fp_ieee_inexact 0
		.amdhsa_exception_int_div_zero 0
	.end_amdhsa_kernel
	.text
.Lfunc_end2:
	.size	_Z10filter_arrPiS_PKii, .Lfunc_end2-_Z10filter_arrPiS_PKii
                                        ; -- End function
	.set _Z10filter_arrPiS_PKii.num_vgpr, 8
	.set _Z10filter_arrPiS_PKii.num_agpr, 0
	.set _Z10filter_arrPiS_PKii.numbered_sgpr, 22
	.set _Z10filter_arrPiS_PKii.num_named_barrier, 0
	.set _Z10filter_arrPiS_PKii.private_seg_size, 0
	.set _Z10filter_arrPiS_PKii.uses_vcc, 1
	.set _Z10filter_arrPiS_PKii.uses_flat_scratch, 0
	.set _Z10filter_arrPiS_PKii.has_dyn_sized_stack, 0
	.set _Z10filter_arrPiS_PKii.has_recursion, 0
	.set _Z10filter_arrPiS_PKii.has_indirect_call, 0
	.section	.AMDGPU.csdata,"",@progbits
; Kernel info:
; codeLenInByte = 588
; TotalNumSgprs: 26
; NumVgprs: 8
; ScratchSize: 0
; MemoryBound: 0
; FloatMode: 240
; IeeeMode: 1
; LDSByteSize: 0 bytes/workgroup (compile time only)
; SGPRBlocks: 3
; VGPRBlocks: 1
; NumSGPRsForWavesPerEU: 26
; NumVGPRsForWavesPerEU: 8
; Occupancy: 10
; WaveLimiterHint : 0
; COMPUTE_PGM_RSRC2:SCRATCH_EN: 0
; COMPUTE_PGM_RSRC2:USER_SGPR: 6
; COMPUTE_PGM_RSRC2:TRAP_HANDLER: 0
; COMPUTE_PGM_RSRC2:TGID_X_EN: 1
; COMPUTE_PGM_RSRC2:TGID_Y_EN: 0
; COMPUTE_PGM_RSRC2:TGID_Z_EN: 0
; COMPUTE_PGM_RSRC2:TIDIG_COMP_CNT: 0
	.text
	.protected	_Z35kernel_cg_coalesced_group_partitionjPibS_i ; -- Begin function _Z35kernel_cg_coalesced_group_partitionjPibS_i
	.globl	_Z35kernel_cg_coalesced_group_partitionjPibS_i
	.p2align	8
	.type	_Z35kernel_cg_coalesced_group_partitionjPibS_i,@function
_Z35kernel_cg_coalesced_group_partitionjPibS_i: ; @_Z35kernel_cg_coalesced_group_partitionjPibS_i
; %bb.0:
	s_load_dword s0, s[4:5], 0x20
	s_load_dword s1, s[4:5], 0x34
	s_add_u32 s8, s4, 40
	s_addc_u32 s9, s5, 0
	s_waitcnt lgkmcnt(0)
	s_abs_i32 s0, s0
	v_cvt_f32_u32_e32 v1, s0
	s_sub_i32 s2, 0, s0
	s_and_b32 s1, s1, 0xffff
	s_mul_i32 s6, s6, s1
	v_rcp_iflag_f32_e32 v1, v1
	v_add_u32_e32 v0, s6, v0
	v_sub_u32_e32 v3, 0, v0
	v_max_i32_e32 v3, v0, v3
	v_mul_f32_e32 v1, 0x4f7ffffe, v1
	v_cvt_u32_f32_e32 v1, v1
	v_ashrrev_i32_e32 v0, 31, v0
	v_mul_lo_u32 v2, s2, v1
	v_mul_hi_u32 v2, v1, v2
	v_add_u32_e32 v1, v1, v2
	v_mul_hi_u32 v1, v3, v1
	v_mul_lo_u32 v1, v1, s0
	v_sub_u32_e32 v1, v3, v1
	v_subrev_u32_e32 v2, s0, v1
	v_cmp_le_u32_e32 vcc, s0, v1
	v_cndmask_b32_e32 v1, v1, v2, vcc
	v_subrev_u32_e32 v2, s0, v1
	v_cmp_le_u32_e32 vcc, s0, v1
	v_cndmask_b32_e32 v1, v1, v2, vcc
	v_xor_b32_e32 v1, v1, v0
	v_sub_u32_e32 v0, v1, v0
	v_cmp_eq_u32_e32 vcc, 0, v0
	s_and_saveexec_b64 s[0:1], vcc
	s_cbranch_execz .LBB3_647
; %bb.1:
	s_load_dword s0, s[4:5], 0x10
	s_load_dwordx2 s[12:13], s[4:5], 0x18
	s_mov_b64 s[6:7], exec
	s_bcnt1_i32_b64 s10, s[6:7]
	s_mov_b64 s[2:3], src_shared_base
	s_waitcnt lgkmcnt(0)
	s_and_b32 s0, 1, s0
	s_mov_b32 s1, 0
	s_cmp_lg_u32 0, -1
	s_cselect_b32 s2, 0, 0
	s_cselect_b32 s3, s3, 0
	s_cmp_eq_u32 s0, 1
	s_mov_b32 s11, s1
	s_cselect_b32 s31, s13, s3
	s_cselect_b32 s33, s12, s2
	v_mbcnt_lo_u32_b32 v0, s6, 0
	v_cmp_lt_u64_e64 s[2:3], s[10:11], 2
	v_mbcnt_hi_u32_b32 v32, s7, v0
	s_and_b64 vcc, exec, s[2:3]
	v_mov_b32_e32 v31, v32
	s_cbranch_vccnz .LBB3_7
; %bb.2:
	v_lshlrev_b32_e32 v0, 2, v32
	v_mov_b32_e32 v1, s31
	v_add_co_u32_e32 v0, vcc, s33, v0
	v_addc_co_u32_e32 v1, vcc, 0, v1, vcc
	s_mov_b32 s11, s10
	v_mov_b32_e32 v31, v32
.LBB3_3:                                ; =>This Inner Loop Header: Depth=1
	s_lshr_b32 s0, s11, 1
	v_cmp_gt_i32_e32 vcc, s0, v32
	flat_store_dword v[0:1], v31
	s_waitcnt vmcnt(0) lgkmcnt(0)
	buffer_wbinvl1_vol
	s_and_saveexec_b64 s[2:3], vcc
	s_cbranch_execz .LBB3_5
; %bb.4:                                ;   in Loop: Header=BB3_3 Depth=1
	s_lshl_b64 s[12:13], s[0:1], 2
	v_mov_b32_e32 v3, s13
	v_add_co_u32_e32 v2, vcc, s12, v0
	v_addc_co_u32_e32 v3, vcc, v1, v3, vcc
	flat_load_dword v2, v[2:3]
	s_waitcnt vmcnt(0) lgkmcnt(0)
	v_add_u32_e32 v31, v2, v31
.LBB3_5:                                ;   in Loop: Header=BB3_3 Depth=1
	s_or_b64 exec, exec, s[2:3]
	s_cmp_gt_u32 s11, 3
	buffer_wbinvl1_vol
	s_cbranch_scc0 .LBB3_7
; %bb.6:                                ;   in Loop: Header=BB3_3 Depth=1
	s_mov_b32 s11, s0
	s_branch .LBB3_3
.LBB3_7:
	s_load_dword s30, s[4:5], 0x0
	v_cmp_eq_u32_e64 s[0:1], 0, v32
	s_and_saveexec_b64 s[12:13], s[0:1]
	s_cbranch_execz .LBB3_384
; %bb.8:
	s_load_dwordx2 s[14:15], s[8:9], 0x50
	v_mbcnt_lo_u32_b32 v0, -1, 0
	v_mbcnt_hi_u32_b32 v30, -1, v0
	v_readfirstlane_b32 s2, v30
	v_mov_b32_e32 v5, 0
	v_mov_b32_e32 v6, 0
	v_cmp_eq_u32_e64 s[2:3], s2, v30
	s_and_saveexec_b64 s[16:17], s[2:3]
	s_cbranch_execz .LBB3_14
; %bb.9:
	v_mov_b32_e32 v0, 0
	s_waitcnt lgkmcnt(0)
	global_load_dwordx2 v[3:4], v0, s[14:15] offset:24 glc
	s_waitcnt vmcnt(0)
	buffer_wbinvl1_vol
	global_load_dwordx2 v[1:2], v0, s[14:15] offset:40
	global_load_dwordx2 v[5:6], v0, s[14:15]
	s_waitcnt vmcnt(1)
	v_and_b32_e32 v1, v1, v3
	v_and_b32_e32 v2, v2, v4
	v_mul_lo_u32 v2, v2, 24
	v_mul_hi_u32 v7, v1, 24
	v_mul_lo_u32 v1, v1, 24
	v_add_u32_e32 v2, v7, v2
	s_waitcnt vmcnt(0)
	v_add_co_u32_e32 v1, vcc, v5, v1
	v_addc_co_u32_e32 v2, vcc, v6, v2, vcc
	global_load_dwordx2 v[1:2], v[1:2], off glc
	s_waitcnt vmcnt(0)
	global_atomic_cmpswap_x2 v[5:6], v0, v[1:4], s[14:15] offset:24 glc
	s_waitcnt vmcnt(0)
	buffer_wbinvl1_vol
	v_cmp_ne_u64_e32 vcc, v[5:6], v[3:4]
	s_and_saveexec_b64 s[18:19], vcc
	s_cbranch_execz .LBB3_13
; %bb.10:
	s_mov_b64 s[20:21], 0
.LBB3_11:                               ; =>This Inner Loop Header: Depth=1
	s_sleep 1
	global_load_dwordx2 v[1:2], v0, s[14:15] offset:40
	global_load_dwordx2 v[7:8], v0, s[14:15]
	v_mov_b32_e32 v3, v5
	v_mov_b32_e32 v4, v6
	s_waitcnt vmcnt(1)
	v_and_b32_e32 v1, v1, v3
	s_waitcnt vmcnt(0)
	v_mad_u64_u32 v[5:6], s[22:23], v1, 24, v[7:8]
	v_and_b32_e32 v2, v2, v4
	v_mov_b32_e32 v1, v6
	v_mad_u64_u32 v[1:2], s[22:23], v2, 24, v[1:2]
	v_mov_b32_e32 v6, v1
	global_load_dwordx2 v[1:2], v[5:6], off glc
	s_waitcnt vmcnt(0)
	global_atomic_cmpswap_x2 v[5:6], v0, v[1:4], s[14:15] offset:24 glc
	s_waitcnt vmcnt(0)
	buffer_wbinvl1_vol
	v_cmp_eq_u64_e32 vcc, v[5:6], v[3:4]
	s_or_b64 s[20:21], vcc, s[20:21]
	s_andn2_b64 exec, exec, s[20:21]
	s_cbranch_execnz .LBB3_11
; %bb.12:
	s_or_b64 exec, exec, s[20:21]
.LBB3_13:
	s_or_b64 exec, exec, s[18:19]
.LBB3_14:
	s_or_b64 exec, exec, s[16:17]
	v_mov_b32_e32 v4, 0
	s_waitcnt lgkmcnt(0)
	global_load_dwordx2 v[7:8], v4, s[14:15] offset:40
	global_load_dwordx4 v[0:3], v4, s[14:15]
	v_readfirstlane_b32 s17, v6
	v_readfirstlane_b32 s16, v5
	s_mov_b64 s[18:19], exec
	s_waitcnt vmcnt(1)
	v_readfirstlane_b32 s20, v7
	v_readfirstlane_b32 s21, v8
	s_and_b64 s[20:21], s[20:21], s[16:17]
	s_mul_i32 s11, s21, 24
	s_mul_hi_u32 s22, s20, 24
	s_mul_i32 s23, s20, 24
	s_add_i32 s11, s22, s11
	v_mov_b32_e32 v5, s11
	s_waitcnt vmcnt(0)
	v_add_co_u32_e32 v7, vcc, s23, v0
	v_addc_co_u32_e32 v8, vcc, v1, v5, vcc
	s_and_saveexec_b64 s[22:23], s[2:3]
	s_cbranch_execz .LBB3_16
; %bb.15:
	v_mov_b32_e32 v9, s18
	v_mov_b32_e32 v10, s19
	;; [unrolled: 1-line block ×4, first 2 shown]
	global_store_dwordx4 v[7:8], v[9:12], off offset:8
.LBB3_16:
	s_or_b64 exec, exec, s[22:23]
	s_lshl_b64 s[18:19], s[20:21], 12
	v_mov_b32_e32 v5, s19
	v_add_co_u32_e32 v2, vcc, s18, v2
	v_addc_co_u32_e32 v11, vcc, v3, v5, vcc
	v_lshlrev_b32_e32 v29, 6, v30
	s_mov_b32 s20, 0
	v_mov_b32_e32 v3, 33
	v_mov_b32_e32 v5, v4
	;; [unrolled: 1-line block ×3, first 2 shown]
	v_readfirstlane_b32 s18, v2
	v_readfirstlane_b32 s19, v11
	v_add_co_u32_e32 v9, vcc, v2, v29
	s_mov_b32 s21, s20
	s_mov_b32 s22, s20
	s_mov_b32 s23, s20
	s_nop 0
	global_store_dwordx4 v29, v[3:6], s[18:19]
	v_mov_b32_e32 v2, s20
	v_addc_co_u32_e32 v10, vcc, 0, v11, vcc
	v_mov_b32_e32 v3, s21
	v_mov_b32_e32 v4, s22
	v_mov_b32_e32 v5, s23
	global_store_dwordx4 v29, v[2:5], s[18:19] offset:16
	global_store_dwordx4 v29, v[2:5], s[18:19] offset:32
	;; [unrolled: 1-line block ×3, first 2 shown]
	s_and_saveexec_b64 s[18:19], s[2:3]
	s_cbranch_execz .LBB3_24
; %bb.17:
	v_mov_b32_e32 v6, 0
	global_load_dwordx2 v[13:14], v6, s[14:15] offset:32 glc
	global_load_dwordx2 v[2:3], v6, s[14:15] offset:40
	v_mov_b32_e32 v11, s16
	v_mov_b32_e32 v12, s17
	s_waitcnt vmcnt(0)
	v_and_b32_e32 v2, s16, v2
	v_and_b32_e32 v3, s17, v3
	v_mul_lo_u32 v3, v3, 24
	v_mul_hi_u32 v4, v2, 24
	v_mul_lo_u32 v2, v2, 24
	v_add_u32_e32 v3, v4, v3
	v_add_co_u32_e32 v4, vcc, v0, v2
	v_addc_co_u32_e32 v5, vcc, v1, v3, vcc
	global_store_dwordx2 v[4:5], v[13:14], off
	s_waitcnt vmcnt(0)
	global_atomic_cmpswap_x2 v[2:3], v6, v[11:14], s[14:15] offset:32 glc
	s_waitcnt vmcnt(0)
	v_cmp_ne_u64_e32 vcc, v[2:3], v[13:14]
	s_and_saveexec_b64 s[20:21], vcc
	s_cbranch_execz .LBB3_20
; %bb.18:
	s_mov_b64 s[22:23], 0
.LBB3_19:                               ; =>This Inner Loop Header: Depth=1
	s_sleep 1
	global_store_dwordx2 v[4:5], v[2:3], off
	v_mov_b32_e32 v0, s16
	v_mov_b32_e32 v1, s17
	s_waitcnt vmcnt(0)
	global_atomic_cmpswap_x2 v[0:1], v6, v[0:3], s[14:15] offset:32 glc
	s_waitcnt vmcnt(0)
	v_cmp_eq_u64_e32 vcc, v[0:1], v[2:3]
	v_mov_b32_e32 v3, v1
	s_or_b64 s[22:23], vcc, s[22:23]
	v_mov_b32_e32 v2, v0
	s_andn2_b64 exec, exec, s[22:23]
	s_cbranch_execnz .LBB3_19
.LBB3_20:
	s_or_b64 exec, exec, s[20:21]
	v_mov_b32_e32 v3, 0
	global_load_dwordx2 v[0:1], v3, s[14:15] offset:16
	s_mov_b64 s[20:21], exec
	v_mbcnt_lo_u32_b32 v2, s20, 0
	v_mbcnt_hi_u32_b32 v2, s21, v2
	v_cmp_eq_u32_e32 vcc, 0, v2
	s_and_saveexec_b64 s[22:23], vcc
	s_cbranch_execz .LBB3_22
; %bb.21:
	s_bcnt1_i32_b64 s11, s[20:21]
	v_mov_b32_e32 v2, s11
	s_waitcnt vmcnt(0)
	global_atomic_add_x2 v[0:1], v[2:3], off offset:8
.LBB3_22:
	s_or_b64 exec, exec, s[22:23]
	s_waitcnt vmcnt(0)
	global_load_dwordx2 v[2:3], v[0:1], off offset:16
	s_waitcnt vmcnt(0)
	v_cmp_eq_u64_e32 vcc, 0, v[2:3]
	s_cbranch_vccnz .LBB3_24
; %bb.23:
	global_load_dword v0, v[0:1], off offset:24
	v_mov_b32_e32 v1, 0
	s_waitcnt vmcnt(0)
	v_readfirstlane_b32 s11, v0
	s_and_b32 m0, s11, 0xffffff
	global_store_dwordx2 v[2:3], v[0:1], off
	s_sendmsg sendmsg(MSG_INTERRUPT)
.LBB3_24:
	s_or_b64 exec, exec, s[18:19]
	s_branch .LBB3_28
.LBB3_25:                               ;   in Loop: Header=BB3_28 Depth=1
	s_or_b64 exec, exec, s[18:19]
	v_readfirstlane_b32 s11, v0
	s_cmp_eq_u32 s11, 0
	s_cbranch_scc1 .LBB3_27
; %bb.26:                               ;   in Loop: Header=BB3_28 Depth=1
	s_sleep 1
	s_cbranch_execnz .LBB3_28
	s_branch .LBB3_30
.LBB3_27:
	s_branch .LBB3_30
.LBB3_28:                               ; =>This Inner Loop Header: Depth=1
	v_mov_b32_e32 v0, 1
	s_and_saveexec_b64 s[18:19], s[2:3]
	s_cbranch_execz .LBB3_25
; %bb.29:                               ;   in Loop: Header=BB3_28 Depth=1
	global_load_dword v0, v[7:8], off offset:20 glc
	s_waitcnt vmcnt(0)
	buffer_wbinvl1_vol
	v_and_b32_e32 v0, 1, v0
	s_branch .LBB3_25
.LBB3_30:
	global_load_dwordx2 v[0:1], v[9:10], off
	s_and_saveexec_b64 s[18:19], s[2:3]
	s_cbranch_execz .LBB3_33
; %bb.31:
	v_mov_b32_e32 v8, 0
	global_load_dwordx2 v[2:3], v8, s[14:15] offset:40
	global_load_dwordx2 v[11:12], v8, s[14:15] offset:24 glc
	global_load_dwordx2 v[4:5], v8, s[14:15]
	s_waitcnt vmcnt(2)
	v_readfirstlane_b32 s20, v2
	v_readfirstlane_b32 s21, v3
	s_add_u32 s11, s20, 1
	s_addc_u32 s22, s21, 0
	s_add_u32 s2, s11, s16
	s_addc_u32 s3, s22, s17
	s_cmp_eq_u64 s[2:3], 0
	s_cselect_b32 s3, s22, s3
	s_cselect_b32 s2, s11, s2
	s_and_b64 s[16:17], s[2:3], s[20:21]
	s_mul_i32 s11, s17, 24
	s_mul_hi_u32 s17, s16, 24
	s_mul_i32 s16, s16, 24
	s_add_i32 s11, s17, s11
	v_mov_b32_e32 v2, s11
	s_waitcnt vmcnt(0)
	v_add_co_u32_e32 v6, vcc, s16, v4
	v_addc_co_u32_e32 v7, vcc, v5, v2, vcc
	v_mov_b32_e32 v9, s2
	global_store_dwordx2 v[6:7], v[11:12], off
	v_mov_b32_e32 v10, s3
	s_waitcnt vmcnt(0)
	global_atomic_cmpswap_x2 v[4:5], v8, v[9:12], s[14:15] offset:24 glc
	s_mov_b64 s[16:17], 0
	s_waitcnt vmcnt(0)
	v_cmp_ne_u64_e32 vcc, v[4:5], v[11:12]
	s_and_b64 exec, exec, vcc
	s_cbranch_execz .LBB3_33
.LBB3_32:                               ; =>This Inner Loop Header: Depth=1
	s_sleep 1
	global_store_dwordx2 v[6:7], v[4:5], off
	v_mov_b32_e32 v2, s2
	v_mov_b32_e32 v3, s3
	s_waitcnt vmcnt(0)
	global_atomic_cmpswap_x2 v[2:3], v8, v[2:5], s[14:15] offset:24 glc
	s_waitcnt vmcnt(0)
	v_cmp_eq_u64_e32 vcc, v[2:3], v[4:5]
	v_mov_b32_e32 v5, v3
	s_or_b64 s[16:17], vcc, s[16:17]
	v_mov_b32_e32 v4, v2
	s_andn2_b64 exec, exec, s[16:17]
	s_cbranch_execnz .LBB3_32
.LBB3_33:
	s_or_b64 exec, exec, s[18:19]
	s_getpc_b64 s[16:17]
	s_add_u32 s16, s16, .str@rel32@lo+4
	s_addc_u32 s17, s17, .str@rel32@hi+12
	s_cmp_lg_u64 s[16:17], 0
	s_cbranch_scc0 .LBB3_119
; %bb.34:
	s_waitcnt vmcnt(0)
	v_and_b32_e32 v33, 2, v0
	v_mov_b32_e32 v26, 0
	v_and_b32_e32 v2, -3, v0
	v_mov_b32_e32 v3, v1
	s_mov_b64 s[18:19], 51
	v_mov_b32_e32 v8, 2
	v_mov_b32_e32 v9, 1
	s_branch .LBB3_36
.LBB3_35:                               ;   in Loop: Header=BB3_36 Depth=1
	s_or_b64 exec, exec, s[24:25]
	s_sub_u32 s18, s18, s20
	s_subb_u32 s19, s19, s21
	s_add_u32 s16, s16, s20
	s_addc_u32 s17, s17, s21
	s_cmp_lg_u64 s[18:19], 0
	s_cbranch_scc0 .LBB3_118
.LBB3_36:                               ; =>This Loop Header: Depth=1
                                        ;     Child Loop BB3_39 Depth 2
                                        ;     Child Loop BB3_47 Depth 2
	;; [unrolled: 1-line block ×11, first 2 shown]
	v_cmp_lt_u64_e64 s[2:3], s[18:19], 56
	v_cmp_gt_u64_e64 s[22:23], s[18:19], 7
	s_and_b64 s[2:3], s[2:3], exec
	s_cselect_b32 s21, s19, 0
	s_cselect_b32 s20, s18, 56
	s_add_u32 s2, s16, 8
	s_addc_u32 s3, s17, 0
	s_and_b64 vcc, exec, s[22:23]
	s_cbranch_vccnz .LBB3_40
; %bb.37:                               ;   in Loop: Header=BB3_36 Depth=1
	s_cmp_eq_u64 s[18:19], 0
	s_cbranch_scc1 .LBB3_41
; %bb.38:                               ;   in Loop: Header=BB3_36 Depth=1
	v_mov_b32_e32 v4, 0
	s_lshl_b64 s[2:3], s[20:21], 3
	s_mov_b64 s[22:23], 0
	v_mov_b32_e32 v5, 0
	s_mov_b64 s[24:25], s[16:17]
.LBB3_39:                               ;   Parent Loop BB3_36 Depth=1
                                        ; =>  This Inner Loop Header: Depth=2
	global_load_ubyte v6, v26, s[24:25]
	s_waitcnt vmcnt(0)
	v_and_b32_e32 v25, 0xffff, v6
	v_lshlrev_b64 v[6:7], s22, v[25:26]
	s_add_u32 s22, s22, 8
	s_addc_u32 s23, s23, 0
	s_add_u32 s24, s24, 1
	s_addc_u32 s25, s25, 0
	v_or_b32_e32 v4, v6, v4
	s_cmp_lg_u32 s2, s22
	v_or_b32_e32 v5, v7, v5
	s_cbranch_scc1 .LBB3_39
	s_branch .LBB3_42
.LBB3_40:                               ;   in Loop: Header=BB3_36 Depth=1
	s_mov_b32 s11, 0
	s_branch .LBB3_43
.LBB3_41:                               ;   in Loop: Header=BB3_36 Depth=1
	v_mov_b32_e32 v4, 0
	v_mov_b32_e32 v5, 0
.LBB3_42:                               ;   in Loop: Header=BB3_36 Depth=1
	s_mov_b64 s[2:3], s[16:17]
	s_mov_b32 s11, 0
	s_cbranch_execnz .LBB3_44
.LBB3_43:                               ;   in Loop: Header=BB3_36 Depth=1
	global_load_dwordx2 v[4:5], v26, s[16:17]
	s_add_i32 s11, s20, -8
.LBB3_44:                               ;   in Loop: Header=BB3_36 Depth=1
	s_add_u32 s22, s2, 8
	s_addc_u32 s23, s3, 0
	s_cmp_gt_u32 s11, 7
	s_cbranch_scc1 .LBB3_48
; %bb.45:                               ;   in Loop: Header=BB3_36 Depth=1
	s_cmp_eq_u32 s11, 0
	s_cbranch_scc1 .LBB3_49
; %bb.46:                               ;   in Loop: Header=BB3_36 Depth=1
	v_mov_b32_e32 v10, 0
	s_mov_b64 s[22:23], 0
	v_mov_b32_e32 v11, 0
	s_mov_b64 s[24:25], 0
.LBB3_47:                               ;   Parent Loop BB3_36 Depth=1
                                        ; =>  This Inner Loop Header: Depth=2
	s_add_u32 s26, s2, s24
	s_addc_u32 s27, s3, s25
	global_load_ubyte v6, v26, s[26:27]
	s_add_u32 s24, s24, 1
	s_addc_u32 s25, s25, 0
	s_waitcnt vmcnt(0)
	v_and_b32_e32 v25, 0xffff, v6
	v_lshlrev_b64 v[6:7], s22, v[25:26]
	s_add_u32 s22, s22, 8
	s_addc_u32 s23, s23, 0
	v_or_b32_e32 v10, v6, v10
	s_cmp_lg_u32 s11, s24
	v_or_b32_e32 v11, v7, v11
	s_cbranch_scc1 .LBB3_47
	s_branch .LBB3_50
.LBB3_48:                               ;   in Loop: Header=BB3_36 Depth=1
                                        ; implicit-def: $vgpr10_vgpr11
	s_mov_b32 s26, 0
	s_branch .LBB3_51
.LBB3_49:                               ;   in Loop: Header=BB3_36 Depth=1
	v_mov_b32_e32 v10, 0
	v_mov_b32_e32 v11, 0
.LBB3_50:                               ;   in Loop: Header=BB3_36 Depth=1
	s_mov_b64 s[22:23], s[2:3]
	s_mov_b32 s26, 0
	s_cbranch_execnz .LBB3_52
.LBB3_51:                               ;   in Loop: Header=BB3_36 Depth=1
	global_load_dwordx2 v[10:11], v26, s[2:3]
	s_add_i32 s26, s11, -8
.LBB3_52:                               ;   in Loop: Header=BB3_36 Depth=1
	s_add_u32 s2, s22, 8
	s_addc_u32 s3, s23, 0
	s_cmp_gt_u32 s26, 7
	s_cbranch_scc1 .LBB3_56
; %bb.53:                               ;   in Loop: Header=BB3_36 Depth=1
	s_cmp_eq_u32 s26, 0
	s_cbranch_scc1 .LBB3_57
; %bb.54:                               ;   in Loop: Header=BB3_36 Depth=1
	v_mov_b32_e32 v12, 0
	s_mov_b64 s[2:3], 0
	v_mov_b32_e32 v13, 0
	s_mov_b64 s[24:25], 0
.LBB3_55:                               ;   Parent Loop BB3_36 Depth=1
                                        ; =>  This Inner Loop Header: Depth=2
	s_add_u32 s28, s22, s24
	s_addc_u32 s29, s23, s25
	global_load_ubyte v6, v26, s[28:29]
	s_add_u32 s24, s24, 1
	s_addc_u32 s25, s25, 0
	s_waitcnt vmcnt(0)
	v_and_b32_e32 v25, 0xffff, v6
	v_lshlrev_b64 v[6:7], s2, v[25:26]
	s_add_u32 s2, s2, 8
	s_addc_u32 s3, s3, 0
	v_or_b32_e32 v12, v6, v12
	s_cmp_lg_u32 s26, s24
	v_or_b32_e32 v13, v7, v13
	s_cbranch_scc1 .LBB3_55
	s_branch .LBB3_58
.LBB3_56:                               ;   in Loop: Header=BB3_36 Depth=1
	s_mov_b32 s11, 0
	s_branch .LBB3_59
.LBB3_57:                               ;   in Loop: Header=BB3_36 Depth=1
	v_mov_b32_e32 v12, 0
	v_mov_b32_e32 v13, 0
.LBB3_58:                               ;   in Loop: Header=BB3_36 Depth=1
	s_mov_b64 s[2:3], s[22:23]
	s_mov_b32 s11, 0
	s_cbranch_execnz .LBB3_60
.LBB3_59:                               ;   in Loop: Header=BB3_36 Depth=1
	global_load_dwordx2 v[12:13], v26, s[22:23]
	s_add_i32 s11, s26, -8
.LBB3_60:                               ;   in Loop: Header=BB3_36 Depth=1
	s_add_u32 s22, s2, 8
	s_addc_u32 s23, s3, 0
	s_cmp_gt_u32 s11, 7
	s_cbranch_scc1 .LBB3_64
; %bb.61:                               ;   in Loop: Header=BB3_36 Depth=1
	s_cmp_eq_u32 s11, 0
	s_cbranch_scc1 .LBB3_65
; %bb.62:                               ;   in Loop: Header=BB3_36 Depth=1
	v_mov_b32_e32 v14, 0
	s_mov_b64 s[22:23], 0
	v_mov_b32_e32 v15, 0
	s_mov_b64 s[24:25], 0
.LBB3_63:                               ;   Parent Loop BB3_36 Depth=1
                                        ; =>  This Inner Loop Header: Depth=2
	s_add_u32 s26, s2, s24
	s_addc_u32 s27, s3, s25
	global_load_ubyte v6, v26, s[26:27]
	s_add_u32 s24, s24, 1
	s_addc_u32 s25, s25, 0
	s_waitcnt vmcnt(0)
	v_and_b32_e32 v25, 0xffff, v6
	v_lshlrev_b64 v[6:7], s22, v[25:26]
	s_add_u32 s22, s22, 8
	s_addc_u32 s23, s23, 0
	v_or_b32_e32 v14, v6, v14
	s_cmp_lg_u32 s11, s24
	v_or_b32_e32 v15, v7, v15
	s_cbranch_scc1 .LBB3_63
	s_branch .LBB3_66
.LBB3_64:                               ;   in Loop: Header=BB3_36 Depth=1
                                        ; implicit-def: $vgpr14_vgpr15
	s_mov_b32 s26, 0
	s_branch .LBB3_67
.LBB3_65:                               ;   in Loop: Header=BB3_36 Depth=1
	v_mov_b32_e32 v14, 0
	v_mov_b32_e32 v15, 0
.LBB3_66:                               ;   in Loop: Header=BB3_36 Depth=1
	s_mov_b64 s[22:23], s[2:3]
	s_mov_b32 s26, 0
	s_cbranch_execnz .LBB3_68
.LBB3_67:                               ;   in Loop: Header=BB3_36 Depth=1
	global_load_dwordx2 v[14:15], v26, s[2:3]
	s_add_i32 s26, s11, -8
.LBB3_68:                               ;   in Loop: Header=BB3_36 Depth=1
	s_add_u32 s2, s22, 8
	s_addc_u32 s3, s23, 0
	s_cmp_gt_u32 s26, 7
	s_cbranch_scc1 .LBB3_72
; %bb.69:                               ;   in Loop: Header=BB3_36 Depth=1
	s_cmp_eq_u32 s26, 0
	s_cbranch_scc1 .LBB3_73
; %bb.70:                               ;   in Loop: Header=BB3_36 Depth=1
	v_mov_b32_e32 v16, 0
	s_mov_b64 s[2:3], 0
	v_mov_b32_e32 v17, 0
	s_mov_b64 s[24:25], 0
.LBB3_71:                               ;   Parent Loop BB3_36 Depth=1
                                        ; =>  This Inner Loop Header: Depth=2
	s_add_u32 s28, s22, s24
	s_addc_u32 s29, s23, s25
	global_load_ubyte v6, v26, s[28:29]
	s_add_u32 s24, s24, 1
	s_addc_u32 s25, s25, 0
	s_waitcnt vmcnt(0)
	v_and_b32_e32 v25, 0xffff, v6
	v_lshlrev_b64 v[6:7], s2, v[25:26]
	s_add_u32 s2, s2, 8
	s_addc_u32 s3, s3, 0
	v_or_b32_e32 v16, v6, v16
	s_cmp_lg_u32 s26, s24
	v_or_b32_e32 v17, v7, v17
	s_cbranch_scc1 .LBB3_71
	s_branch .LBB3_74
.LBB3_72:                               ;   in Loop: Header=BB3_36 Depth=1
	s_mov_b32 s11, 0
	s_branch .LBB3_75
.LBB3_73:                               ;   in Loop: Header=BB3_36 Depth=1
	v_mov_b32_e32 v16, 0
	v_mov_b32_e32 v17, 0
.LBB3_74:                               ;   in Loop: Header=BB3_36 Depth=1
	s_mov_b64 s[2:3], s[22:23]
	s_mov_b32 s11, 0
	s_cbranch_execnz .LBB3_76
.LBB3_75:                               ;   in Loop: Header=BB3_36 Depth=1
	global_load_dwordx2 v[16:17], v26, s[22:23]
	s_add_i32 s11, s26, -8
.LBB3_76:                               ;   in Loop: Header=BB3_36 Depth=1
	s_add_u32 s22, s2, 8
	s_addc_u32 s23, s3, 0
	s_cmp_gt_u32 s11, 7
	s_cbranch_scc1 .LBB3_80
; %bb.77:                               ;   in Loop: Header=BB3_36 Depth=1
	s_cmp_eq_u32 s11, 0
	s_cbranch_scc1 .LBB3_81
; %bb.78:                               ;   in Loop: Header=BB3_36 Depth=1
	v_mov_b32_e32 v18, 0
	s_mov_b64 s[22:23], 0
	v_mov_b32_e32 v19, 0
	s_mov_b64 s[24:25], 0
.LBB3_79:                               ;   Parent Loop BB3_36 Depth=1
                                        ; =>  This Inner Loop Header: Depth=2
	s_add_u32 s26, s2, s24
	s_addc_u32 s27, s3, s25
	global_load_ubyte v6, v26, s[26:27]
	s_add_u32 s24, s24, 1
	s_addc_u32 s25, s25, 0
	s_waitcnt vmcnt(0)
	v_and_b32_e32 v25, 0xffff, v6
	v_lshlrev_b64 v[6:7], s22, v[25:26]
	s_add_u32 s22, s22, 8
	s_addc_u32 s23, s23, 0
	v_or_b32_e32 v18, v6, v18
	s_cmp_lg_u32 s11, s24
	v_or_b32_e32 v19, v7, v19
	s_cbranch_scc1 .LBB3_79
	s_branch .LBB3_82
.LBB3_80:                               ;   in Loop: Header=BB3_36 Depth=1
                                        ; implicit-def: $vgpr18_vgpr19
	s_mov_b32 s26, 0
	s_branch .LBB3_83
.LBB3_81:                               ;   in Loop: Header=BB3_36 Depth=1
	v_mov_b32_e32 v18, 0
	v_mov_b32_e32 v19, 0
.LBB3_82:                               ;   in Loop: Header=BB3_36 Depth=1
	s_mov_b64 s[22:23], s[2:3]
	s_mov_b32 s26, 0
	s_cbranch_execnz .LBB3_84
.LBB3_83:                               ;   in Loop: Header=BB3_36 Depth=1
	global_load_dwordx2 v[18:19], v26, s[2:3]
	s_add_i32 s26, s11, -8
.LBB3_84:                               ;   in Loop: Header=BB3_36 Depth=1
	s_cmp_gt_u32 s26, 7
	s_cbranch_scc1 .LBB3_88
; %bb.85:                               ;   in Loop: Header=BB3_36 Depth=1
	s_cmp_eq_u32 s26, 0
	s_cbranch_scc1 .LBB3_89
; %bb.86:                               ;   in Loop: Header=BB3_36 Depth=1
	v_mov_b32_e32 v20, 0
	s_mov_b64 s[2:3], 0
	v_mov_b32_e32 v21, 0
	s_mov_b64 s[24:25], s[22:23]
.LBB3_87:                               ;   Parent Loop BB3_36 Depth=1
                                        ; =>  This Inner Loop Header: Depth=2
	global_load_ubyte v6, v26, s[24:25]
	s_add_i32 s26, s26, -1
	s_waitcnt vmcnt(0)
	v_and_b32_e32 v25, 0xffff, v6
	v_lshlrev_b64 v[6:7], s2, v[25:26]
	s_add_u32 s2, s2, 8
	s_addc_u32 s3, s3, 0
	s_add_u32 s24, s24, 1
	s_addc_u32 s25, s25, 0
	v_or_b32_e32 v20, v6, v20
	s_cmp_lg_u32 s26, 0
	v_or_b32_e32 v21, v7, v21
	s_cbranch_scc1 .LBB3_87
	s_branch .LBB3_90
.LBB3_88:                               ;   in Loop: Header=BB3_36 Depth=1
	s_branch .LBB3_91
.LBB3_89:                               ;   in Loop: Header=BB3_36 Depth=1
	v_mov_b32_e32 v20, 0
	v_mov_b32_e32 v21, 0
.LBB3_90:                               ;   in Loop: Header=BB3_36 Depth=1
	s_cbranch_execnz .LBB3_92
.LBB3_91:                               ;   in Loop: Header=BB3_36 Depth=1
	global_load_dwordx2 v[20:21], v26, s[22:23]
.LBB3_92:                               ;   in Loop: Header=BB3_36 Depth=1
	v_readfirstlane_b32 s2, v30
	v_mov_b32_e32 v6, 0
	v_mov_b32_e32 v7, 0
	v_cmp_eq_u32_e64 s[2:3], s2, v30
	s_and_saveexec_b64 s[22:23], s[2:3]
	s_cbranch_execz .LBB3_98
; %bb.93:                               ;   in Loop: Header=BB3_36 Depth=1
	global_load_dwordx2 v[24:25], v26, s[14:15] offset:24 glc
	s_waitcnt vmcnt(0)
	buffer_wbinvl1_vol
	global_load_dwordx2 v[6:7], v26, s[14:15] offset:40
	global_load_dwordx2 v[22:23], v26, s[14:15]
	s_waitcnt vmcnt(1)
	v_and_b32_e32 v6, v6, v24
	v_and_b32_e32 v7, v7, v25
	v_mul_lo_u32 v7, v7, 24
	v_mul_hi_u32 v27, v6, 24
	v_mul_lo_u32 v6, v6, 24
	v_add_u32_e32 v7, v27, v7
	s_waitcnt vmcnt(0)
	v_add_co_u32_e32 v6, vcc, v22, v6
	v_addc_co_u32_e32 v7, vcc, v23, v7, vcc
	global_load_dwordx2 v[22:23], v[6:7], off glc
	s_waitcnt vmcnt(0)
	global_atomic_cmpswap_x2 v[6:7], v26, v[22:25], s[14:15] offset:24 glc
	s_waitcnt vmcnt(0)
	buffer_wbinvl1_vol
	v_cmp_ne_u64_e32 vcc, v[6:7], v[24:25]
	s_and_saveexec_b64 s[24:25], vcc
	s_cbranch_execz .LBB3_97
; %bb.94:                               ;   in Loop: Header=BB3_36 Depth=1
	s_mov_b64 s[26:27], 0
.LBB3_95:                               ;   Parent Loop BB3_36 Depth=1
                                        ; =>  This Inner Loop Header: Depth=2
	s_sleep 1
	global_load_dwordx2 v[22:23], v26, s[14:15] offset:40
	global_load_dwordx2 v[27:28], v26, s[14:15]
	v_mov_b32_e32 v25, v7
	v_mov_b32_e32 v24, v6
	s_waitcnt vmcnt(1)
	v_and_b32_e32 v6, v22, v24
	s_waitcnt vmcnt(0)
	v_mad_u64_u32 v[6:7], s[28:29], v6, 24, v[27:28]
	v_and_b32_e32 v22, v23, v25
	v_mad_u64_u32 v[22:23], s[28:29], v22, 24, v[7:8]
	v_mov_b32_e32 v7, v22
	global_load_dwordx2 v[22:23], v[6:7], off glc
	s_waitcnt vmcnt(0)
	global_atomic_cmpswap_x2 v[6:7], v26, v[22:25], s[14:15] offset:24 glc
	s_waitcnt vmcnt(0)
	buffer_wbinvl1_vol
	v_cmp_eq_u64_e32 vcc, v[6:7], v[24:25]
	s_or_b64 s[26:27], vcc, s[26:27]
	s_andn2_b64 exec, exec, s[26:27]
	s_cbranch_execnz .LBB3_95
; %bb.96:                               ;   in Loop: Header=BB3_36 Depth=1
	s_or_b64 exec, exec, s[26:27]
.LBB3_97:                               ;   in Loop: Header=BB3_36 Depth=1
	s_or_b64 exec, exec, s[24:25]
.LBB3_98:                               ;   in Loop: Header=BB3_36 Depth=1
	s_or_b64 exec, exec, s[22:23]
	global_load_dwordx2 v[27:28], v26, s[14:15] offset:40
	global_load_dwordx4 v[22:25], v26, s[14:15]
	v_readfirstlane_b32 s23, v7
	v_readfirstlane_b32 s22, v6
	s_mov_b64 s[24:25], exec
	s_waitcnt vmcnt(1)
	v_readfirstlane_b32 s26, v27
	v_readfirstlane_b32 s27, v28
	s_and_b64 s[26:27], s[26:27], s[22:23]
	s_mul_i32 s11, s27, 24
	s_mul_hi_u32 s28, s26, 24
	s_mul_i32 s29, s26, 24
	s_add_i32 s11, s28, s11
	v_mov_b32_e32 v6, s11
	s_waitcnt vmcnt(0)
	v_add_co_u32_e32 v27, vcc, s29, v22
	v_addc_co_u32_e32 v28, vcc, v23, v6, vcc
	s_and_saveexec_b64 s[28:29], s[2:3]
	s_cbranch_execz .LBB3_100
; %bb.99:                               ;   in Loop: Header=BB3_36 Depth=1
	v_mov_b32_e32 v6, s24
	v_mov_b32_e32 v7, s25
	global_store_dwordx4 v[27:28], v[6:9], off offset:8
.LBB3_100:                              ;   in Loop: Header=BB3_36 Depth=1
	s_or_b64 exec, exec, s[28:29]
	s_lshl_b64 s[24:25], s[26:27], 12
	v_mov_b32_e32 v6, s25
	v_add_co_u32_e32 v24, vcc, s24, v24
	v_addc_co_u32_e32 v34, vcc, v25, v6, vcc
	v_cmp_lt_u64_e64 vcc, s[18:19], 57
	s_lshl_b32 s11, s20, 2
	v_cndmask_b32_e32 v6, 0, v33, vcc
	s_add_i32 s11, s11, 28
	v_and_b32_e32 v2, 0xffffff1f, v2
	s_and_b32 s11, s11, 0x1e0
	v_or_b32_e32 v2, v2, v6
	v_or_b32_e32 v2, s11, v2
	v_readfirstlane_b32 s24, v24
	v_readfirstlane_b32 s25, v34
	s_nop 4
	global_store_dwordx4 v29, v[2:5], s[24:25]
	global_store_dwordx4 v29, v[10:13], s[24:25] offset:16
	global_store_dwordx4 v29, v[14:17], s[24:25] offset:32
	;; [unrolled: 1-line block ×3, first 2 shown]
	s_and_saveexec_b64 s[24:25], s[2:3]
	s_cbranch_execz .LBB3_108
; %bb.101:                              ;   in Loop: Header=BB3_36 Depth=1
	global_load_dwordx2 v[12:13], v26, s[14:15] offset:32 glc
	global_load_dwordx2 v[2:3], v26, s[14:15] offset:40
	v_mov_b32_e32 v10, s22
	v_mov_b32_e32 v11, s23
	s_waitcnt vmcnt(0)
	v_readfirstlane_b32 s26, v2
	v_readfirstlane_b32 s27, v3
	s_and_b64 s[26:27], s[26:27], s[22:23]
	s_mul_i32 s11, s27, 24
	s_mul_hi_u32 s27, s26, 24
	s_mul_i32 s26, s26, 24
	s_add_i32 s11, s27, s11
	v_mov_b32_e32 v2, s11
	v_add_co_u32_e32 v6, vcc, s26, v22
	v_addc_co_u32_e32 v7, vcc, v23, v2, vcc
	global_store_dwordx2 v[6:7], v[12:13], off
	s_waitcnt vmcnt(0)
	global_atomic_cmpswap_x2 v[4:5], v26, v[10:13], s[14:15] offset:32 glc
	s_waitcnt vmcnt(0)
	v_cmp_ne_u64_e32 vcc, v[4:5], v[12:13]
	s_and_saveexec_b64 s[26:27], vcc
	s_cbranch_execz .LBB3_104
; %bb.102:                              ;   in Loop: Header=BB3_36 Depth=1
	s_mov_b64 s[28:29], 0
.LBB3_103:                              ;   Parent Loop BB3_36 Depth=1
                                        ; =>  This Inner Loop Header: Depth=2
	s_sleep 1
	global_store_dwordx2 v[6:7], v[4:5], off
	v_mov_b32_e32 v2, s22
	v_mov_b32_e32 v3, s23
	s_waitcnt vmcnt(0)
	global_atomic_cmpswap_x2 v[2:3], v26, v[2:5], s[14:15] offset:32 glc
	s_waitcnt vmcnt(0)
	v_cmp_eq_u64_e32 vcc, v[2:3], v[4:5]
	v_mov_b32_e32 v5, v3
	s_or_b64 s[28:29], vcc, s[28:29]
	v_mov_b32_e32 v4, v2
	s_andn2_b64 exec, exec, s[28:29]
	s_cbranch_execnz .LBB3_103
.LBB3_104:                              ;   in Loop: Header=BB3_36 Depth=1
	s_or_b64 exec, exec, s[26:27]
	global_load_dwordx2 v[2:3], v26, s[14:15] offset:16
	s_mov_b64 s[28:29], exec
	v_mbcnt_lo_u32_b32 v4, s28, 0
	v_mbcnt_hi_u32_b32 v4, s29, v4
	v_cmp_eq_u32_e32 vcc, 0, v4
	s_and_saveexec_b64 s[26:27], vcc
	s_cbranch_execz .LBB3_106
; %bb.105:                              ;   in Loop: Header=BB3_36 Depth=1
	s_bcnt1_i32_b64 s11, s[28:29]
	v_mov_b32_e32 v25, s11
	s_waitcnt vmcnt(0)
	global_atomic_add_x2 v[2:3], v[25:26], off offset:8
.LBB3_106:                              ;   in Loop: Header=BB3_36 Depth=1
	s_or_b64 exec, exec, s[26:27]
	s_waitcnt vmcnt(0)
	global_load_dwordx2 v[4:5], v[2:3], off offset:16
	s_waitcnt vmcnt(0)
	v_cmp_eq_u64_e32 vcc, 0, v[4:5]
	s_cbranch_vccnz .LBB3_108
; %bb.107:                              ;   in Loop: Header=BB3_36 Depth=1
	global_load_dword v25, v[2:3], off offset:24
	s_waitcnt vmcnt(0)
	v_readfirstlane_b32 s11, v25
	s_and_b32 m0, s11, 0xffffff
	global_store_dwordx2 v[4:5], v[25:26], off
	s_sendmsg sendmsg(MSG_INTERRUPT)
.LBB3_108:                              ;   in Loop: Header=BB3_36 Depth=1
	s_or_b64 exec, exec, s[24:25]
	v_add_co_u32_e32 v2, vcc, v24, v29
	v_addc_co_u32_e32 v3, vcc, 0, v34, vcc
	s_branch .LBB3_112
.LBB3_109:                              ;   in Loop: Header=BB3_112 Depth=2
	s_or_b64 exec, exec, s[24:25]
	v_readfirstlane_b32 s11, v4
	s_cmp_eq_u32 s11, 0
	s_cbranch_scc1 .LBB3_111
; %bb.110:                              ;   in Loop: Header=BB3_112 Depth=2
	s_sleep 1
	s_cbranch_execnz .LBB3_112
	s_branch .LBB3_114
.LBB3_111:                              ;   in Loop: Header=BB3_36 Depth=1
	s_branch .LBB3_114
.LBB3_112:                              ;   Parent Loop BB3_36 Depth=1
                                        ; =>  This Inner Loop Header: Depth=2
	v_mov_b32_e32 v4, 1
	s_and_saveexec_b64 s[24:25], s[2:3]
	s_cbranch_execz .LBB3_109
; %bb.113:                              ;   in Loop: Header=BB3_112 Depth=2
	global_load_dword v4, v[27:28], off offset:20 glc
	s_waitcnt vmcnt(0)
	buffer_wbinvl1_vol
	v_and_b32_e32 v4, 1, v4
	s_branch .LBB3_109
.LBB3_114:                              ;   in Loop: Header=BB3_36 Depth=1
	global_load_dwordx2 v[2:3], v[2:3], off
	s_and_saveexec_b64 s[24:25], s[2:3]
	s_cbranch_execz .LBB3_35
; %bb.115:                              ;   in Loop: Header=BB3_36 Depth=1
	global_load_dwordx2 v[4:5], v26, s[14:15] offset:40
	global_load_dwordx2 v[14:15], v26, s[14:15] offset:24 glc
	global_load_dwordx2 v[6:7], v26, s[14:15]
	s_waitcnt vmcnt(2)
	v_readfirstlane_b32 s26, v4
	v_readfirstlane_b32 s27, v5
	s_add_u32 s11, s26, 1
	s_addc_u32 s28, s27, 0
	s_add_u32 s2, s11, s22
	s_addc_u32 s3, s28, s23
	s_cmp_eq_u64 s[2:3], 0
	s_cselect_b32 s3, s28, s3
	s_cselect_b32 s2, s11, s2
	s_and_b64 s[22:23], s[2:3], s[26:27]
	s_mul_i32 s11, s23, 24
	s_mul_hi_u32 s23, s22, 24
	s_mul_i32 s22, s22, 24
	s_add_i32 s11, s23, s11
	v_mov_b32_e32 v4, s11
	s_waitcnt vmcnt(0)
	v_add_co_u32_e32 v10, vcc, s22, v6
	v_addc_co_u32_e32 v11, vcc, v7, v4, vcc
	v_mov_b32_e32 v12, s2
	global_store_dwordx2 v[10:11], v[14:15], off
	v_mov_b32_e32 v13, s3
	s_waitcnt vmcnt(0)
	global_atomic_cmpswap_x2 v[6:7], v26, v[12:15], s[14:15] offset:24 glc
	s_waitcnt vmcnt(0)
	v_cmp_ne_u64_e32 vcc, v[6:7], v[14:15]
	s_and_b64 exec, exec, vcc
	s_cbranch_execz .LBB3_35
; %bb.116:                              ;   in Loop: Header=BB3_36 Depth=1
	s_mov_b64 s[22:23], 0
.LBB3_117:                              ;   Parent Loop BB3_36 Depth=1
                                        ; =>  This Inner Loop Header: Depth=2
	s_sleep 1
	global_store_dwordx2 v[10:11], v[6:7], off
	v_mov_b32_e32 v4, s2
	v_mov_b32_e32 v5, s3
	s_waitcnt vmcnt(0)
	global_atomic_cmpswap_x2 v[4:5], v26, v[4:7], s[14:15] offset:24 glc
	s_waitcnt vmcnt(0)
	v_cmp_eq_u64_e32 vcc, v[4:5], v[6:7]
	v_mov_b32_e32 v7, v5
	s_or_b64 s[22:23], vcc, s[22:23]
	v_mov_b32_e32 v6, v4
	s_andn2_b64 exec, exec, s[22:23]
	s_cbranch_execnz .LBB3_117
	s_branch .LBB3_35
.LBB3_118:
	s_branch .LBB3_146
.LBB3_119:
                                        ; implicit-def: $vgpr2_vgpr3
	s_cbranch_execz .LBB3_146
; %bb.120:
	v_readfirstlane_b32 s2, v30
	v_mov_b32_e32 v8, 0
	v_mov_b32_e32 v9, 0
	v_cmp_eq_u32_e64 s[2:3], s2, v30
	s_and_saveexec_b64 s[16:17], s[2:3]
	s_cbranch_execz .LBB3_126
; %bb.121:
	s_waitcnt vmcnt(0)
	v_mov_b32_e32 v2, 0
	global_load_dwordx2 v[5:6], v2, s[14:15] offset:24 glc
	s_waitcnt vmcnt(0)
	buffer_wbinvl1_vol
	global_load_dwordx2 v[3:4], v2, s[14:15] offset:40
	global_load_dwordx2 v[7:8], v2, s[14:15]
	s_waitcnt vmcnt(1)
	v_and_b32_e32 v3, v3, v5
	v_and_b32_e32 v4, v4, v6
	v_mul_lo_u32 v4, v4, 24
	v_mul_hi_u32 v9, v3, 24
	v_mul_lo_u32 v3, v3, 24
	v_add_u32_e32 v4, v9, v4
	s_waitcnt vmcnt(0)
	v_add_co_u32_e32 v3, vcc, v7, v3
	v_addc_co_u32_e32 v4, vcc, v8, v4, vcc
	global_load_dwordx2 v[3:4], v[3:4], off glc
	s_waitcnt vmcnt(0)
	global_atomic_cmpswap_x2 v[8:9], v2, v[3:6], s[14:15] offset:24 glc
	s_waitcnt vmcnt(0)
	buffer_wbinvl1_vol
	v_cmp_ne_u64_e32 vcc, v[8:9], v[5:6]
	s_and_saveexec_b64 s[18:19], vcc
	s_cbranch_execz .LBB3_125
; %bb.122:
	s_mov_b64 s[20:21], 0
.LBB3_123:                              ; =>This Inner Loop Header: Depth=1
	s_sleep 1
	global_load_dwordx2 v[3:4], v2, s[14:15] offset:40
	global_load_dwordx2 v[10:11], v2, s[14:15]
	v_mov_b32_e32 v5, v8
	v_mov_b32_e32 v6, v9
	s_waitcnt vmcnt(1)
	v_and_b32_e32 v3, v3, v5
	s_waitcnt vmcnt(0)
	v_mad_u64_u32 v[7:8], s[22:23], v3, 24, v[10:11]
	v_and_b32_e32 v4, v4, v6
	v_mov_b32_e32 v3, v8
	v_mad_u64_u32 v[3:4], s[22:23], v4, 24, v[3:4]
	v_mov_b32_e32 v8, v3
	global_load_dwordx2 v[3:4], v[7:8], off glc
	s_waitcnt vmcnt(0)
	global_atomic_cmpswap_x2 v[8:9], v2, v[3:6], s[14:15] offset:24 glc
	s_waitcnt vmcnt(0)
	buffer_wbinvl1_vol
	v_cmp_eq_u64_e32 vcc, v[8:9], v[5:6]
	s_or_b64 s[20:21], vcc, s[20:21]
	s_andn2_b64 exec, exec, s[20:21]
	s_cbranch_execnz .LBB3_123
; %bb.124:
	s_or_b64 exec, exec, s[20:21]
.LBB3_125:
	s_or_b64 exec, exec, s[18:19]
.LBB3_126:
	s_or_b64 exec, exec, s[16:17]
	s_waitcnt vmcnt(0)
	v_mov_b32_e32 v2, 0
	global_load_dwordx2 v[10:11], v2, s[14:15] offset:40
	global_load_dwordx4 v[4:7], v2, s[14:15]
	v_readfirstlane_b32 s17, v9
	v_readfirstlane_b32 s16, v8
	s_mov_b64 s[18:19], exec
	s_waitcnt vmcnt(1)
	v_readfirstlane_b32 s20, v10
	v_readfirstlane_b32 s21, v11
	s_and_b64 s[20:21], s[20:21], s[16:17]
	s_mul_i32 s11, s21, 24
	s_mul_hi_u32 s22, s20, 24
	s_mul_i32 s23, s20, 24
	s_add_i32 s11, s22, s11
	v_mov_b32_e32 v3, s11
	s_waitcnt vmcnt(0)
	v_add_co_u32_e32 v8, vcc, s23, v4
	v_addc_co_u32_e32 v9, vcc, v5, v3, vcc
	s_and_saveexec_b64 s[22:23], s[2:3]
	s_cbranch_execz .LBB3_128
; %bb.127:
	v_mov_b32_e32 v10, s18
	v_mov_b32_e32 v11, s19
	;; [unrolled: 1-line block ×4, first 2 shown]
	global_store_dwordx4 v[8:9], v[10:13], off offset:8
.LBB3_128:
	s_or_b64 exec, exec, s[22:23]
	s_lshl_b64 s[18:19], s[20:21], 12
	v_mov_b32_e32 v3, s19
	v_add_co_u32_e32 v10, vcc, s18, v6
	v_addc_co_u32_e32 v11, vcc, v7, v3, vcc
	s_movk_i32 s11, 0xff1f
	v_and_or_b32 v0, v0, s11, 32
	s_mov_b32 s20, 0
	v_mov_b32_e32 v3, v2
	v_readfirstlane_b32 s18, v10
	v_readfirstlane_b32 s19, v11
	v_add_co_u32_e32 v6, vcc, v10, v29
	s_mov_b32 s21, s20
	s_mov_b32 s22, s20
	;; [unrolled: 1-line block ×3, first 2 shown]
	s_nop 0
	global_store_dwordx4 v29, v[0:3], s[18:19]
	v_addc_co_u32_e32 v7, vcc, 0, v11, vcc
	v_mov_b32_e32 v0, s20
	v_mov_b32_e32 v1, s21
	;; [unrolled: 1-line block ×4, first 2 shown]
	global_store_dwordx4 v29, v[0:3], s[18:19] offset:16
	global_store_dwordx4 v29, v[0:3], s[18:19] offset:32
	;; [unrolled: 1-line block ×3, first 2 shown]
	s_and_saveexec_b64 s[18:19], s[2:3]
	s_cbranch_execz .LBB3_136
; %bb.129:
	v_mov_b32_e32 v10, 0
	global_load_dwordx2 v[13:14], v10, s[14:15] offset:32 glc
	global_load_dwordx2 v[0:1], v10, s[14:15] offset:40
	v_mov_b32_e32 v11, s16
	v_mov_b32_e32 v12, s17
	s_waitcnt vmcnt(0)
	v_readfirstlane_b32 s20, v0
	v_readfirstlane_b32 s21, v1
	s_and_b64 s[20:21], s[20:21], s[16:17]
	s_mul_i32 s11, s21, 24
	s_mul_hi_u32 s21, s20, 24
	s_mul_i32 s20, s20, 24
	s_add_i32 s11, s21, s11
	v_mov_b32_e32 v0, s11
	v_add_co_u32_e32 v4, vcc, s20, v4
	v_addc_co_u32_e32 v5, vcc, v5, v0, vcc
	global_store_dwordx2 v[4:5], v[13:14], off
	s_waitcnt vmcnt(0)
	global_atomic_cmpswap_x2 v[2:3], v10, v[11:14], s[14:15] offset:32 glc
	s_waitcnt vmcnt(0)
	v_cmp_ne_u64_e32 vcc, v[2:3], v[13:14]
	s_and_saveexec_b64 s[20:21], vcc
	s_cbranch_execz .LBB3_132
; %bb.130:
	s_mov_b64 s[22:23], 0
.LBB3_131:                              ; =>This Inner Loop Header: Depth=1
	s_sleep 1
	global_store_dwordx2 v[4:5], v[2:3], off
	v_mov_b32_e32 v0, s16
	v_mov_b32_e32 v1, s17
	s_waitcnt vmcnt(0)
	global_atomic_cmpswap_x2 v[0:1], v10, v[0:3], s[14:15] offset:32 glc
	s_waitcnt vmcnt(0)
	v_cmp_eq_u64_e32 vcc, v[0:1], v[2:3]
	v_mov_b32_e32 v3, v1
	s_or_b64 s[22:23], vcc, s[22:23]
	v_mov_b32_e32 v2, v0
	s_andn2_b64 exec, exec, s[22:23]
	s_cbranch_execnz .LBB3_131
.LBB3_132:
	s_or_b64 exec, exec, s[20:21]
	v_mov_b32_e32 v3, 0
	global_load_dwordx2 v[0:1], v3, s[14:15] offset:16
	s_mov_b64 s[20:21], exec
	v_mbcnt_lo_u32_b32 v2, s20, 0
	v_mbcnt_hi_u32_b32 v2, s21, v2
	v_cmp_eq_u32_e32 vcc, 0, v2
	s_and_saveexec_b64 s[22:23], vcc
	s_cbranch_execz .LBB3_134
; %bb.133:
	s_bcnt1_i32_b64 s11, s[20:21]
	v_mov_b32_e32 v2, s11
	s_waitcnt vmcnt(0)
	global_atomic_add_x2 v[0:1], v[2:3], off offset:8
.LBB3_134:
	s_or_b64 exec, exec, s[22:23]
	s_waitcnt vmcnt(0)
	global_load_dwordx2 v[2:3], v[0:1], off offset:16
	s_waitcnt vmcnt(0)
	v_cmp_eq_u64_e32 vcc, 0, v[2:3]
	s_cbranch_vccnz .LBB3_136
; %bb.135:
	global_load_dword v0, v[0:1], off offset:24
	v_mov_b32_e32 v1, 0
	s_waitcnt vmcnt(0)
	v_readfirstlane_b32 s11, v0
	s_and_b32 m0, s11, 0xffffff
	global_store_dwordx2 v[2:3], v[0:1], off
	s_sendmsg sendmsg(MSG_INTERRUPT)
.LBB3_136:
	s_or_b64 exec, exec, s[18:19]
	s_branch .LBB3_140
.LBB3_137:                              ;   in Loop: Header=BB3_140 Depth=1
	s_or_b64 exec, exec, s[18:19]
	v_readfirstlane_b32 s11, v0
	s_cmp_eq_u32 s11, 0
	s_cbranch_scc1 .LBB3_139
; %bb.138:                              ;   in Loop: Header=BB3_140 Depth=1
	s_sleep 1
	s_cbranch_execnz .LBB3_140
	s_branch .LBB3_142
.LBB3_139:
	s_branch .LBB3_142
.LBB3_140:                              ; =>This Inner Loop Header: Depth=1
	v_mov_b32_e32 v0, 1
	s_and_saveexec_b64 s[18:19], s[2:3]
	s_cbranch_execz .LBB3_137
; %bb.141:                              ;   in Loop: Header=BB3_140 Depth=1
	global_load_dword v0, v[8:9], off offset:20 glc
	s_waitcnt vmcnt(0)
	buffer_wbinvl1_vol
	v_and_b32_e32 v0, 1, v0
	s_branch .LBB3_137
.LBB3_142:
	global_load_dwordx2 v[2:3], v[6:7], off
	s_and_saveexec_b64 s[18:19], s[2:3]
	s_cbranch_execz .LBB3_145
; %bb.143:
	v_mov_b32_e32 v8, 0
	global_load_dwordx2 v[0:1], v8, s[14:15] offset:40
	global_load_dwordx2 v[11:12], v8, s[14:15] offset:24 glc
	global_load_dwordx2 v[4:5], v8, s[14:15]
	s_waitcnt vmcnt(2)
	v_readfirstlane_b32 s20, v0
	v_readfirstlane_b32 s21, v1
	s_add_u32 s11, s20, 1
	s_addc_u32 s22, s21, 0
	s_add_u32 s2, s11, s16
	s_addc_u32 s3, s22, s17
	s_cmp_eq_u64 s[2:3], 0
	s_cselect_b32 s3, s22, s3
	s_cselect_b32 s2, s11, s2
	s_and_b64 s[16:17], s[2:3], s[20:21]
	s_mul_i32 s11, s17, 24
	s_mul_hi_u32 s17, s16, 24
	s_mul_i32 s16, s16, 24
	s_add_i32 s11, s17, s11
	v_mov_b32_e32 v1, s11
	s_waitcnt vmcnt(0)
	v_add_co_u32_e32 v0, vcc, s16, v4
	v_addc_co_u32_e32 v1, vcc, v5, v1, vcc
	v_mov_b32_e32 v9, s2
	global_store_dwordx2 v[0:1], v[11:12], off
	v_mov_b32_e32 v10, s3
	s_waitcnt vmcnt(0)
	global_atomic_cmpswap_x2 v[6:7], v8, v[9:12], s[14:15] offset:24 glc
	s_mov_b64 s[16:17], 0
	s_waitcnt vmcnt(0)
	v_cmp_ne_u64_e32 vcc, v[6:7], v[11:12]
	s_and_b64 exec, exec, vcc
	s_cbranch_execz .LBB3_145
.LBB3_144:                              ; =>This Inner Loop Header: Depth=1
	s_sleep 1
	global_store_dwordx2 v[0:1], v[6:7], off
	v_mov_b32_e32 v4, s2
	v_mov_b32_e32 v5, s3
	s_waitcnt vmcnt(0)
	global_atomic_cmpswap_x2 v[4:5], v8, v[4:7], s[14:15] offset:24 glc
	s_waitcnt vmcnt(0)
	v_cmp_eq_u64_e32 vcc, v[4:5], v[6:7]
	v_mov_b32_e32 v7, v5
	s_or_b64 s[16:17], vcc, s[16:17]
	v_mov_b32_e32 v6, v4
	s_andn2_b64 exec, exec, s[16:17]
	s_cbranch_execnz .LBB3_144
.LBB3_145:
	s_or_b64 exec, exec, s[18:19]
.LBB3_146:
	v_readfirstlane_b32 s2, v30
	s_waitcnt vmcnt(0)
	v_mov_b32_e32 v0, 0
	v_mov_b32_e32 v1, 0
	v_cmp_eq_u32_e64 s[2:3], s2, v30
	s_and_saveexec_b64 s[16:17], s[2:3]
	s_cbranch_execz .LBB3_152
; %bb.147:
	v_mov_b32_e32 v4, 0
	global_load_dwordx2 v[7:8], v4, s[14:15] offset:24 glc
	s_waitcnt vmcnt(0)
	buffer_wbinvl1_vol
	global_load_dwordx2 v[0:1], v4, s[14:15] offset:40
	global_load_dwordx2 v[5:6], v4, s[14:15]
	s_waitcnt vmcnt(1)
	v_and_b32_e32 v0, v0, v7
	v_and_b32_e32 v1, v1, v8
	v_mul_lo_u32 v1, v1, 24
	v_mul_hi_u32 v9, v0, 24
	v_mul_lo_u32 v0, v0, 24
	v_add_u32_e32 v1, v9, v1
	s_waitcnt vmcnt(0)
	v_add_co_u32_e32 v0, vcc, v5, v0
	v_addc_co_u32_e32 v1, vcc, v6, v1, vcc
	global_load_dwordx2 v[5:6], v[0:1], off glc
	s_waitcnt vmcnt(0)
	global_atomic_cmpswap_x2 v[0:1], v4, v[5:8], s[14:15] offset:24 glc
	s_waitcnt vmcnt(0)
	buffer_wbinvl1_vol
	v_cmp_ne_u64_e32 vcc, v[0:1], v[7:8]
	s_and_saveexec_b64 s[18:19], vcc
	s_cbranch_execz .LBB3_151
; %bb.148:
	s_mov_b64 s[20:21], 0
.LBB3_149:                              ; =>This Inner Loop Header: Depth=1
	s_sleep 1
	global_load_dwordx2 v[5:6], v4, s[14:15] offset:40
	global_load_dwordx2 v[9:10], v4, s[14:15]
	v_mov_b32_e32 v8, v1
	v_mov_b32_e32 v7, v0
	s_waitcnt vmcnt(1)
	v_and_b32_e32 v0, v5, v7
	s_waitcnt vmcnt(0)
	v_mad_u64_u32 v[0:1], s[22:23], v0, 24, v[9:10]
	v_and_b32_e32 v5, v6, v8
	v_mad_u64_u32 v[5:6], s[22:23], v5, 24, v[1:2]
	v_mov_b32_e32 v1, v5
	global_load_dwordx2 v[5:6], v[0:1], off glc
	s_waitcnt vmcnt(0)
	global_atomic_cmpswap_x2 v[0:1], v4, v[5:8], s[14:15] offset:24 glc
	s_waitcnt vmcnt(0)
	buffer_wbinvl1_vol
	v_cmp_eq_u64_e32 vcc, v[0:1], v[7:8]
	s_or_b64 s[20:21], vcc, s[20:21]
	s_andn2_b64 exec, exec, s[20:21]
	s_cbranch_execnz .LBB3_149
; %bb.150:
	s_or_b64 exec, exec, s[20:21]
.LBB3_151:
	s_or_b64 exec, exec, s[18:19]
.LBB3_152:
	s_or_b64 exec, exec, s[16:17]
	v_mov_b32_e32 v5, 0
	global_load_dwordx2 v[10:11], v5, s[14:15] offset:40
	global_load_dwordx4 v[6:9], v5, s[14:15]
	v_readfirstlane_b32 s17, v1
	v_readfirstlane_b32 s16, v0
	s_mov_b64 s[18:19], exec
	s_waitcnt vmcnt(1)
	v_readfirstlane_b32 s20, v10
	v_readfirstlane_b32 s21, v11
	s_and_b64 s[20:21], s[20:21], s[16:17]
	s_mul_i32 s11, s21, 24
	s_mul_hi_u32 s22, s20, 24
	s_mul_i32 s23, s20, 24
	s_add_i32 s11, s22, s11
	v_mov_b32_e32 v0, s11
	s_waitcnt vmcnt(0)
	v_add_co_u32_e32 v10, vcc, s23, v6
	v_addc_co_u32_e32 v11, vcc, v7, v0, vcc
	s_and_saveexec_b64 s[22:23], s[2:3]
	s_cbranch_execz .LBB3_154
; %bb.153:
	v_mov_b32_e32 v12, s18
	v_mov_b32_e32 v13, s19
	v_mov_b32_e32 v14, 2
	v_mov_b32_e32 v15, 1
	global_store_dwordx4 v[10:11], v[12:15], off offset:8
.LBB3_154:
	s_or_b64 exec, exec, s[22:23]
	s_lshl_b64 s[18:19], s[20:21], 12
	v_mov_b32_e32 v0, s19
	v_add_co_u32_e32 v1, vcc, s18, v8
	v_addc_co_u32_e32 v0, vcc, v9, v0, vcc
	s_add_i32 s11, s10, -1
	s_movk_i32 s18, 0xff1f
	s_mov_b32 s20, 0
	v_and_or_b32 v2, v2, s18, 32
	v_add_co_u32_e32 v8, vcc, v1, v29
	v_mov_b32_e32 v4, s11
	v_readfirstlane_b32 s18, v1
	v_readfirstlane_b32 s19, v0
	v_addc_co_u32_e32 v9, vcc, 0, v0, vcc
	s_mov_b32 s21, s20
	s_mov_b32 s22, s20
	;; [unrolled: 1-line block ×3, first 2 shown]
	s_nop 0
	global_store_dwordx4 v29, v[2:5], s[18:19]
	v_mov_b32_e32 v0, s20
	v_mov_b32_e32 v1, s21
	;; [unrolled: 1-line block ×4, first 2 shown]
	global_store_dwordx4 v29, v[0:3], s[18:19] offset:16
	global_store_dwordx4 v29, v[0:3], s[18:19] offset:32
	global_store_dwordx4 v29, v[0:3], s[18:19] offset:48
	s_and_saveexec_b64 s[18:19], s[2:3]
	s_cbranch_execz .LBB3_162
; %bb.155:
	v_mov_b32_e32 v12, 0
	global_load_dwordx2 v[15:16], v12, s[14:15] offset:32 glc
	global_load_dwordx2 v[0:1], v12, s[14:15] offset:40
	v_mov_b32_e32 v13, s16
	v_mov_b32_e32 v14, s17
	s_waitcnt vmcnt(0)
	v_readfirstlane_b32 s20, v0
	v_readfirstlane_b32 s21, v1
	s_and_b64 s[20:21], s[20:21], s[16:17]
	s_mul_i32 s11, s21, 24
	s_mul_hi_u32 s21, s20, 24
	s_mul_i32 s20, s20, 24
	s_add_i32 s11, s21, s11
	v_mov_b32_e32 v0, s11
	v_add_co_u32_e32 v4, vcc, s20, v6
	v_addc_co_u32_e32 v5, vcc, v7, v0, vcc
	global_store_dwordx2 v[4:5], v[15:16], off
	s_waitcnt vmcnt(0)
	global_atomic_cmpswap_x2 v[2:3], v12, v[13:16], s[14:15] offset:32 glc
	s_waitcnt vmcnt(0)
	v_cmp_ne_u64_e32 vcc, v[2:3], v[15:16]
	s_and_saveexec_b64 s[20:21], vcc
	s_cbranch_execz .LBB3_158
; %bb.156:
	s_mov_b64 s[22:23], 0
.LBB3_157:                              ; =>This Inner Loop Header: Depth=1
	s_sleep 1
	global_store_dwordx2 v[4:5], v[2:3], off
	v_mov_b32_e32 v0, s16
	v_mov_b32_e32 v1, s17
	s_waitcnt vmcnt(0)
	global_atomic_cmpswap_x2 v[0:1], v12, v[0:3], s[14:15] offset:32 glc
	s_waitcnt vmcnt(0)
	v_cmp_eq_u64_e32 vcc, v[0:1], v[2:3]
	v_mov_b32_e32 v3, v1
	s_or_b64 s[22:23], vcc, s[22:23]
	v_mov_b32_e32 v2, v0
	s_andn2_b64 exec, exec, s[22:23]
	s_cbranch_execnz .LBB3_157
.LBB3_158:
	s_or_b64 exec, exec, s[20:21]
	v_mov_b32_e32 v3, 0
	global_load_dwordx2 v[0:1], v3, s[14:15] offset:16
	s_mov_b64 s[20:21], exec
	v_mbcnt_lo_u32_b32 v2, s20, 0
	v_mbcnt_hi_u32_b32 v2, s21, v2
	v_cmp_eq_u32_e32 vcc, 0, v2
	s_and_saveexec_b64 s[22:23], vcc
	s_cbranch_execz .LBB3_160
; %bb.159:
	s_bcnt1_i32_b64 s11, s[20:21]
	v_mov_b32_e32 v2, s11
	s_waitcnt vmcnt(0)
	global_atomic_add_x2 v[0:1], v[2:3], off offset:8
.LBB3_160:
	s_or_b64 exec, exec, s[22:23]
	s_waitcnt vmcnt(0)
	global_load_dwordx2 v[2:3], v[0:1], off offset:16
	s_waitcnt vmcnt(0)
	v_cmp_eq_u64_e32 vcc, 0, v[2:3]
	s_cbranch_vccnz .LBB3_162
; %bb.161:
	global_load_dword v0, v[0:1], off offset:24
	v_mov_b32_e32 v1, 0
	s_waitcnt vmcnt(0)
	v_readfirstlane_b32 s11, v0
	s_and_b32 m0, s11, 0xffffff
	global_store_dwordx2 v[2:3], v[0:1], off
	s_sendmsg sendmsg(MSG_INTERRUPT)
.LBB3_162:
	s_or_b64 exec, exec, s[18:19]
	s_branch .LBB3_166
.LBB3_163:                              ;   in Loop: Header=BB3_166 Depth=1
	s_or_b64 exec, exec, s[18:19]
	v_readfirstlane_b32 s11, v0
	s_cmp_eq_u32 s11, 0
	s_cbranch_scc1 .LBB3_165
; %bb.164:                              ;   in Loop: Header=BB3_166 Depth=1
	s_sleep 1
	s_cbranch_execnz .LBB3_166
	s_branch .LBB3_168
.LBB3_165:
	s_branch .LBB3_168
.LBB3_166:                              ; =>This Inner Loop Header: Depth=1
	v_mov_b32_e32 v0, 1
	s_and_saveexec_b64 s[18:19], s[2:3]
	s_cbranch_execz .LBB3_163
; %bb.167:                              ;   in Loop: Header=BB3_166 Depth=1
	global_load_dword v0, v[10:11], off offset:20 glc
	s_waitcnt vmcnt(0)
	buffer_wbinvl1_vol
	v_and_b32_e32 v0, 1, v0
	s_branch .LBB3_163
.LBB3_168:
	global_load_dwordx2 v[0:1], v[8:9], off
	s_and_saveexec_b64 s[18:19], s[2:3]
	s_cbranch_execz .LBB3_171
; %bb.169:
	v_mov_b32_e32 v8, 0
	global_load_dwordx2 v[2:3], v8, s[14:15] offset:40
	global_load_dwordx2 v[11:12], v8, s[14:15] offset:24 glc
	global_load_dwordx2 v[4:5], v8, s[14:15]
	s_waitcnt vmcnt(2)
	v_readfirstlane_b32 s20, v2
	v_readfirstlane_b32 s21, v3
	s_add_u32 s11, s20, 1
	s_addc_u32 s22, s21, 0
	s_add_u32 s2, s11, s16
	s_addc_u32 s3, s22, s17
	s_cmp_eq_u64 s[2:3], 0
	s_cselect_b32 s3, s22, s3
	s_cselect_b32 s2, s11, s2
	s_and_b64 s[16:17], s[2:3], s[20:21]
	s_mul_i32 s11, s17, 24
	s_mul_hi_u32 s17, s16, 24
	s_mul_i32 s16, s16, 24
	s_add_i32 s11, s17, s11
	v_mov_b32_e32 v2, s11
	s_waitcnt vmcnt(0)
	v_add_co_u32_e32 v6, vcc, s16, v4
	v_addc_co_u32_e32 v7, vcc, v5, v2, vcc
	v_mov_b32_e32 v9, s2
	global_store_dwordx2 v[6:7], v[11:12], off
	v_mov_b32_e32 v10, s3
	s_waitcnt vmcnt(0)
	global_atomic_cmpswap_x2 v[4:5], v8, v[9:12], s[14:15] offset:24 glc
	s_mov_b64 s[16:17], 0
	s_waitcnt vmcnt(0)
	v_cmp_ne_u64_e32 vcc, v[4:5], v[11:12]
	s_and_b64 exec, exec, vcc
	s_cbranch_execz .LBB3_171
.LBB3_170:                              ; =>This Inner Loop Header: Depth=1
	s_sleep 1
	global_store_dwordx2 v[6:7], v[4:5], off
	v_mov_b32_e32 v2, s2
	v_mov_b32_e32 v3, s3
	s_waitcnt vmcnt(0)
	global_atomic_cmpswap_x2 v[2:3], v8, v[2:5], s[14:15] offset:24 glc
	s_waitcnt vmcnt(0)
	v_cmp_eq_u64_e32 vcc, v[2:3], v[4:5]
	v_mov_b32_e32 v5, v3
	s_or_b64 s[16:17], vcc, s[16:17]
	v_mov_b32_e32 v4, v2
	s_andn2_b64 exec, exec, s[16:17]
	s_cbranch_execnz .LBB3_170
.LBB3_171:
	s_or_b64 exec, exec, s[18:19]
	v_readfirstlane_b32 s2, v30
	v_mov_b32_e32 v8, 0
	v_mov_b32_e32 v9, 0
	v_cmp_eq_u32_e64 s[2:3], s2, v30
	s_and_saveexec_b64 s[16:17], s[2:3]
	s_cbranch_execz .LBB3_177
; %bb.172:
	v_mov_b32_e32 v2, 0
	global_load_dwordx2 v[5:6], v2, s[14:15] offset:24 glc
	s_waitcnt vmcnt(0)
	buffer_wbinvl1_vol
	global_load_dwordx2 v[3:4], v2, s[14:15] offset:40
	global_load_dwordx2 v[7:8], v2, s[14:15]
	s_waitcnt vmcnt(1)
	v_and_b32_e32 v3, v3, v5
	v_and_b32_e32 v4, v4, v6
	v_mul_lo_u32 v4, v4, 24
	v_mul_hi_u32 v9, v3, 24
	v_mul_lo_u32 v3, v3, 24
	v_add_u32_e32 v4, v9, v4
	s_waitcnt vmcnt(0)
	v_add_co_u32_e32 v3, vcc, v7, v3
	v_addc_co_u32_e32 v4, vcc, v8, v4, vcc
	global_load_dwordx2 v[3:4], v[3:4], off glc
	s_waitcnt vmcnt(0)
	global_atomic_cmpswap_x2 v[8:9], v2, v[3:6], s[14:15] offset:24 glc
	s_waitcnt vmcnt(0)
	buffer_wbinvl1_vol
	v_cmp_ne_u64_e32 vcc, v[8:9], v[5:6]
	s_and_saveexec_b64 s[18:19], vcc
	s_cbranch_execz .LBB3_176
; %bb.173:
	s_mov_b64 s[20:21], 0
.LBB3_174:                              ; =>This Inner Loop Header: Depth=1
	s_sleep 1
	global_load_dwordx2 v[3:4], v2, s[14:15] offset:40
	global_load_dwordx2 v[10:11], v2, s[14:15]
	v_mov_b32_e32 v5, v8
	v_mov_b32_e32 v6, v9
	s_waitcnt vmcnt(1)
	v_and_b32_e32 v3, v3, v5
	s_waitcnt vmcnt(0)
	v_mad_u64_u32 v[7:8], s[22:23], v3, 24, v[10:11]
	v_and_b32_e32 v4, v4, v6
	v_mov_b32_e32 v3, v8
	v_mad_u64_u32 v[3:4], s[22:23], v4, 24, v[3:4]
	v_mov_b32_e32 v8, v3
	global_load_dwordx2 v[3:4], v[7:8], off glc
	s_waitcnt vmcnt(0)
	global_atomic_cmpswap_x2 v[8:9], v2, v[3:6], s[14:15] offset:24 glc
	s_waitcnt vmcnt(0)
	buffer_wbinvl1_vol
	v_cmp_eq_u64_e32 vcc, v[8:9], v[5:6]
	s_or_b64 s[20:21], vcc, s[20:21]
	s_andn2_b64 exec, exec, s[20:21]
	s_cbranch_execnz .LBB3_174
; %bb.175:
	s_or_b64 exec, exec, s[20:21]
.LBB3_176:
	s_or_b64 exec, exec, s[18:19]
.LBB3_177:
	s_or_b64 exec, exec, s[16:17]
	v_mov_b32_e32 v3, 0
	global_load_dwordx2 v[10:11], v3, s[14:15] offset:40
	global_load_dwordx4 v[4:7], v3, s[14:15]
	v_readfirstlane_b32 s17, v9
	v_readfirstlane_b32 s16, v8
	s_mov_b64 s[18:19], exec
	s_waitcnt vmcnt(1)
	v_readfirstlane_b32 s20, v10
	v_readfirstlane_b32 s21, v11
	s_and_b64 s[20:21], s[20:21], s[16:17]
	s_mul_i32 s11, s21, 24
	s_mul_hi_u32 s22, s20, 24
	s_mul_i32 s23, s20, 24
	s_add_i32 s11, s22, s11
	v_mov_b32_e32 v2, s11
	s_waitcnt vmcnt(0)
	v_add_co_u32_e32 v8, vcc, s23, v4
	v_addc_co_u32_e32 v9, vcc, v5, v2, vcc
	s_and_saveexec_b64 s[22:23], s[2:3]
	s_cbranch_execz .LBB3_179
; %bb.178:
	v_mov_b32_e32 v10, s18
	v_mov_b32_e32 v11, s19
	;; [unrolled: 1-line block ×4, first 2 shown]
	global_store_dwordx4 v[8:9], v[10:13], off offset:8
.LBB3_179:
	s_or_b64 exec, exec, s[22:23]
	s_lshl_b64 s[18:19], s[20:21], 12
	v_mov_b32_e32 v2, s19
	v_add_co_u32_e32 v6, vcc, s18, v6
	v_addc_co_u32_e32 v7, vcc, v7, v2, vcc
	v_cndmask_b32_e64 v2, -1, v31, s[0:1]
	s_movk_i32 s0, 0xff1d
	v_and_or_b32 v0, v0, s0, 34
	v_readfirstlane_b32 s0, v6
	v_readfirstlane_b32 s1, v7
	s_mov_b32 s20, 0
	s_mov_b32 s21, s20
	;; [unrolled: 1-line block ×4, first 2 shown]
	s_nop 0
	global_store_dwordx4 v29, v[0:3], s[0:1]
	s_nop 0
	v_mov_b32_e32 v0, s20
	v_mov_b32_e32 v1, s21
	v_mov_b32_e32 v2, s22
	v_mov_b32_e32 v3, s23
	global_store_dwordx4 v29, v[0:3], s[0:1] offset:16
	global_store_dwordx4 v29, v[0:3], s[0:1] offset:32
	global_store_dwordx4 v29, v[0:3], s[0:1] offset:48
	s_and_saveexec_b64 s[0:1], s[2:3]
	s_cbranch_execz .LBB3_187
; %bb.180:
	v_mov_b32_e32 v6, 0
	global_load_dwordx2 v[12:13], v6, s[14:15] offset:32 glc
	global_load_dwordx2 v[0:1], v6, s[14:15] offset:40
	v_mov_b32_e32 v10, s16
	v_mov_b32_e32 v11, s17
	s_waitcnt vmcnt(0)
	v_readfirstlane_b32 s18, v0
	v_readfirstlane_b32 s19, v1
	s_and_b64 s[18:19], s[18:19], s[16:17]
	s_mul_i32 s11, s19, 24
	s_mul_hi_u32 s19, s18, 24
	s_mul_i32 s18, s18, 24
	s_add_i32 s11, s19, s11
	v_mov_b32_e32 v0, s11
	v_add_co_u32_e32 v4, vcc, s18, v4
	v_addc_co_u32_e32 v5, vcc, v5, v0, vcc
	global_store_dwordx2 v[4:5], v[12:13], off
	s_waitcnt vmcnt(0)
	global_atomic_cmpswap_x2 v[2:3], v6, v[10:13], s[14:15] offset:32 glc
	s_waitcnt vmcnt(0)
	v_cmp_ne_u64_e32 vcc, v[2:3], v[12:13]
	s_and_saveexec_b64 s[18:19], vcc
	s_cbranch_execz .LBB3_183
; %bb.181:
	s_mov_b64 s[20:21], 0
.LBB3_182:                              ; =>This Inner Loop Header: Depth=1
	s_sleep 1
	global_store_dwordx2 v[4:5], v[2:3], off
	v_mov_b32_e32 v0, s16
	v_mov_b32_e32 v1, s17
	s_waitcnt vmcnt(0)
	global_atomic_cmpswap_x2 v[0:1], v6, v[0:3], s[14:15] offset:32 glc
	s_waitcnt vmcnt(0)
	v_cmp_eq_u64_e32 vcc, v[0:1], v[2:3]
	v_mov_b32_e32 v3, v1
	s_or_b64 s[20:21], vcc, s[20:21]
	v_mov_b32_e32 v2, v0
	s_andn2_b64 exec, exec, s[20:21]
	s_cbranch_execnz .LBB3_182
.LBB3_183:
	s_or_b64 exec, exec, s[18:19]
	v_mov_b32_e32 v3, 0
	global_load_dwordx2 v[0:1], v3, s[14:15] offset:16
	s_mov_b64 s[18:19], exec
	v_mbcnt_lo_u32_b32 v2, s18, 0
	v_mbcnt_hi_u32_b32 v2, s19, v2
	v_cmp_eq_u32_e32 vcc, 0, v2
	s_and_saveexec_b64 s[20:21], vcc
	s_cbranch_execz .LBB3_185
; %bb.184:
	s_bcnt1_i32_b64 s11, s[18:19]
	v_mov_b32_e32 v2, s11
	s_waitcnt vmcnt(0)
	global_atomic_add_x2 v[0:1], v[2:3], off offset:8
.LBB3_185:
	s_or_b64 exec, exec, s[20:21]
	s_waitcnt vmcnt(0)
	global_load_dwordx2 v[2:3], v[0:1], off offset:16
	s_waitcnt vmcnt(0)
	v_cmp_eq_u64_e32 vcc, 0, v[2:3]
	s_cbranch_vccnz .LBB3_187
; %bb.186:
	global_load_dword v0, v[0:1], off offset:24
	v_mov_b32_e32 v1, 0
	s_waitcnt vmcnt(0)
	v_readfirstlane_b32 s11, v0
	s_and_b32 m0, s11, 0xffffff
	global_store_dwordx2 v[2:3], v[0:1], off
	s_sendmsg sendmsg(MSG_INTERRUPT)
.LBB3_187:
	s_or_b64 exec, exec, s[0:1]
	s_branch .LBB3_191
.LBB3_188:                              ;   in Loop: Header=BB3_191 Depth=1
	s_or_b64 exec, exec, s[0:1]
	v_readfirstlane_b32 s0, v0
	s_cmp_eq_u32 s0, 0
	s_cbranch_scc1 .LBB3_190
; %bb.189:                              ;   in Loop: Header=BB3_191 Depth=1
	s_sleep 1
	s_cbranch_execnz .LBB3_191
	s_branch .LBB3_193
.LBB3_190:
	s_branch .LBB3_193
.LBB3_191:                              ; =>This Inner Loop Header: Depth=1
	v_mov_b32_e32 v0, 1
	s_and_saveexec_b64 s[0:1], s[2:3]
	s_cbranch_execz .LBB3_188
; %bb.192:                              ;   in Loop: Header=BB3_191 Depth=1
	global_load_dword v0, v[8:9], off offset:20 glc
	s_waitcnt vmcnt(0)
	buffer_wbinvl1_vol
	v_and_b32_e32 v0, 1, v0
	s_branch .LBB3_188
.LBB3_193:
	s_and_saveexec_b64 s[0:1], s[2:3]
	s_cbranch_execz .LBB3_196
; %bb.194:
	v_mov_b32_e32 v6, 0
	global_load_dwordx2 v[0:1], v6, s[14:15] offset:40
	global_load_dwordx2 v[9:10], v6, s[14:15] offset:24 glc
	global_load_dwordx2 v[2:3], v6, s[14:15]
	s_waitcnt vmcnt(2)
	v_readfirstlane_b32 s18, v0
	v_readfirstlane_b32 s19, v1
	s_add_u32 s11, s18, 1
	s_addc_u32 s20, s19, 0
	s_add_u32 s2, s11, s16
	s_addc_u32 s3, s20, s17
	s_cmp_eq_u64 s[2:3], 0
	s_cselect_b32 s3, s20, s3
	s_cselect_b32 s2, s11, s2
	s_and_b64 s[16:17], s[2:3], s[18:19]
	s_mul_i32 s11, s17, 24
	s_mul_hi_u32 s17, s16, 24
	s_mul_i32 s16, s16, 24
	s_add_i32 s11, s17, s11
	v_mov_b32_e32 v0, s11
	s_waitcnt vmcnt(0)
	v_add_co_u32_e32 v4, vcc, s16, v2
	v_addc_co_u32_e32 v5, vcc, v3, v0, vcc
	v_mov_b32_e32 v7, s2
	global_store_dwordx2 v[4:5], v[9:10], off
	v_mov_b32_e32 v8, s3
	s_waitcnt vmcnt(0)
	global_atomic_cmpswap_x2 v[2:3], v6, v[7:10], s[14:15] offset:24 glc
	s_mov_b64 s[16:17], 0
	s_waitcnt vmcnt(0)
	v_cmp_ne_u64_e32 vcc, v[2:3], v[9:10]
	s_and_b64 exec, exec, vcc
	s_cbranch_execz .LBB3_196
.LBB3_195:                              ; =>This Inner Loop Header: Depth=1
	s_sleep 1
	global_store_dwordx2 v[4:5], v[2:3], off
	v_mov_b32_e32 v0, s2
	v_mov_b32_e32 v1, s3
	s_waitcnt vmcnt(0)
	global_atomic_cmpswap_x2 v[0:1], v6, v[0:3], s[14:15] offset:24 glc
	s_waitcnt vmcnt(0)
	v_cmp_eq_u64_e32 vcc, v[0:1], v[2:3]
	v_mov_b32_e32 v3, v1
	s_or_b64 s[16:17], vcc, s[16:17]
	v_mov_b32_e32 v2, v0
	s_andn2_b64 exec, exec, s[16:17]
	s_cbranch_execnz .LBB3_195
.LBB3_196:
	s_or_b64 exec, exec, s[0:1]
	v_cvt_f32_u32_e32 v0, s30
	s_sub_i32 s0, 0, s30
	v_readfirstlane_b32 s1, v30
	v_mov_b32_e32 v5, 0
	v_rcp_iflag_f32_e32 v0, v0
	v_mov_b32_e32 v6, 0
	v_mul_f32_e32 v0, 0x4f7ffffe, v0
	v_cvt_u32_f32_e32 v0, v0
	v_readfirstlane_b32 s11, v0
	s_mul_i32 s0, s0, s11
	s_mul_hi_u32 s20, s11, s0
	v_cmp_eq_u32_e64 s[0:1], s1, v30
	s_and_saveexec_b64 s[2:3], s[0:1]
	s_cbranch_execz .LBB3_202
; %bb.197:
	v_mov_b32_e32 v0, 0
	global_load_dwordx2 v[3:4], v0, s[14:15] offset:24 glc
	s_waitcnt vmcnt(0)
	buffer_wbinvl1_vol
	global_load_dwordx2 v[1:2], v0, s[14:15] offset:40
	global_load_dwordx2 v[5:6], v0, s[14:15]
	s_waitcnt vmcnt(1)
	v_and_b32_e32 v1, v1, v3
	v_and_b32_e32 v2, v2, v4
	v_mul_lo_u32 v2, v2, 24
	v_mul_hi_u32 v7, v1, 24
	v_mul_lo_u32 v1, v1, 24
	v_add_u32_e32 v2, v7, v2
	s_waitcnt vmcnt(0)
	v_add_co_u32_e32 v1, vcc, v5, v1
	v_addc_co_u32_e32 v2, vcc, v6, v2, vcc
	global_load_dwordx2 v[1:2], v[1:2], off glc
	s_waitcnt vmcnt(0)
	global_atomic_cmpswap_x2 v[5:6], v0, v[1:4], s[14:15] offset:24 glc
	s_waitcnt vmcnt(0)
	buffer_wbinvl1_vol
	v_cmp_ne_u64_e32 vcc, v[5:6], v[3:4]
	s_and_saveexec_b64 s[16:17], vcc
	s_cbranch_execz .LBB3_201
; %bb.198:
	s_mov_b64 s[18:19], 0
.LBB3_199:                              ; =>This Inner Loop Header: Depth=1
	s_sleep 1
	global_load_dwordx2 v[1:2], v0, s[14:15] offset:40
	global_load_dwordx2 v[7:8], v0, s[14:15]
	v_mov_b32_e32 v3, v5
	v_mov_b32_e32 v4, v6
	s_waitcnt vmcnt(1)
	v_and_b32_e32 v1, v1, v3
	s_waitcnt vmcnt(0)
	v_mad_u64_u32 v[5:6], s[22:23], v1, 24, v[7:8]
	v_and_b32_e32 v2, v2, v4
	v_mov_b32_e32 v1, v6
	v_mad_u64_u32 v[1:2], s[22:23], v2, 24, v[1:2]
	v_mov_b32_e32 v6, v1
	global_load_dwordx2 v[1:2], v[5:6], off glc
	s_waitcnt vmcnt(0)
	global_atomic_cmpswap_x2 v[5:6], v0, v[1:4], s[14:15] offset:24 glc
	s_waitcnt vmcnt(0)
	buffer_wbinvl1_vol
	v_cmp_eq_u64_e32 vcc, v[5:6], v[3:4]
	s_or_b64 s[18:19], vcc, s[18:19]
	s_andn2_b64 exec, exec, s[18:19]
	s_cbranch_execnz .LBB3_199
; %bb.200:
	s_or_b64 exec, exec, s[18:19]
.LBB3_201:
	s_or_b64 exec, exec, s[16:17]
.LBB3_202:
	s_or_b64 exec, exec, s[2:3]
	v_mov_b32_e32 v4, 0
	global_load_dwordx2 v[7:8], v4, s[14:15] offset:40
	global_load_dwordx4 v[0:3], v4, s[14:15]
	v_readfirstlane_b32 s3, v6
	v_readfirstlane_b32 s2, v5
	s_add_i32 s11, s11, s20
	s_mov_b64 s[16:17], exec
	s_waitcnt vmcnt(1)
	v_readfirstlane_b32 s18, v7
	v_readfirstlane_b32 s19, v8
	s_and_b64 s[18:19], s[18:19], s[2:3]
	s_mul_i32 s20, s19, 24
	s_mul_hi_u32 s21, s18, 24
	s_mul_i32 s22, s18, 24
	s_add_i32 s20, s21, s20
	v_mov_b32_e32 v5, s20
	s_waitcnt vmcnt(0)
	v_add_co_u32_e32 v7, vcc, s22, v0
	v_addc_co_u32_e32 v8, vcc, v1, v5, vcc
	s_and_saveexec_b64 s[20:21], s[0:1]
	s_cbranch_execz .LBB3_204
; %bb.203:
	v_mov_b32_e32 v9, s16
	v_mov_b32_e32 v10, s17
	;; [unrolled: 1-line block ×4, first 2 shown]
	global_store_dwordx4 v[7:8], v[9:12], off offset:8
.LBB3_204:
	s_or_b64 exec, exec, s[20:21]
	s_lshl_b64 s[16:17], s[18:19], 12
	v_mov_b32_e32 v5, s17
	v_add_co_u32_e32 v2, vcc, s16, v2
	v_addc_co_u32_e32 v11, vcc, v3, v5, vcc
	s_mov_b32 s16, 0
	v_mov_b32_e32 v3, 33
	v_mov_b32_e32 v5, v4
	;; [unrolled: 1-line block ×3, first 2 shown]
	v_readfirstlane_b32 s20, v2
	v_readfirstlane_b32 s21, v11
	v_add_co_u32_e32 v9, vcc, v2, v29
	s_mov_b32 s17, s16
	s_mov_b32 s18, s16
	;; [unrolled: 1-line block ×3, first 2 shown]
	s_nop 0
	global_store_dwordx4 v29, v[3:6], s[20:21]
	v_mov_b32_e32 v2, s16
	s_mul_hi_u32 s11, s10, s11
	v_addc_co_u32_e32 v10, vcc, 0, v11, vcc
	v_mov_b32_e32 v3, s17
	v_mov_b32_e32 v4, s18
	;; [unrolled: 1-line block ×3, first 2 shown]
	global_store_dwordx4 v29, v[2:5], s[20:21] offset:16
	global_store_dwordx4 v29, v[2:5], s[20:21] offset:32
	;; [unrolled: 1-line block ×3, first 2 shown]
	s_and_saveexec_b64 s[16:17], s[0:1]
	s_cbranch_execz .LBB3_212
; %bb.205:
	v_mov_b32_e32 v6, 0
	global_load_dwordx2 v[13:14], v6, s[14:15] offset:32 glc
	global_load_dwordx2 v[2:3], v6, s[14:15] offset:40
	v_mov_b32_e32 v11, s2
	v_mov_b32_e32 v12, s3
	s_waitcnt vmcnt(0)
	v_readfirstlane_b32 s18, v2
	v_readfirstlane_b32 s19, v3
	s_and_b64 s[18:19], s[18:19], s[2:3]
	s_mul_i32 s19, s19, 24
	s_mul_hi_u32 s20, s18, 24
	s_mul_i32 s18, s18, 24
	s_add_i32 s19, s20, s19
	v_mov_b32_e32 v2, s19
	v_add_co_u32_e32 v4, vcc, s18, v0
	v_addc_co_u32_e32 v5, vcc, v1, v2, vcc
	global_store_dwordx2 v[4:5], v[13:14], off
	s_waitcnt vmcnt(0)
	global_atomic_cmpswap_x2 v[2:3], v6, v[11:14], s[14:15] offset:32 glc
	s_waitcnt vmcnt(0)
	v_cmp_ne_u64_e32 vcc, v[2:3], v[13:14]
	s_and_saveexec_b64 s[18:19], vcc
	s_cbranch_execz .LBB3_208
; %bb.206:
	s_mov_b64 s[20:21], 0
.LBB3_207:                              ; =>This Inner Loop Header: Depth=1
	s_sleep 1
	global_store_dwordx2 v[4:5], v[2:3], off
	v_mov_b32_e32 v0, s2
	v_mov_b32_e32 v1, s3
	s_waitcnt vmcnt(0)
	global_atomic_cmpswap_x2 v[0:1], v6, v[0:3], s[14:15] offset:32 glc
	s_waitcnt vmcnt(0)
	v_cmp_eq_u64_e32 vcc, v[0:1], v[2:3]
	v_mov_b32_e32 v3, v1
	s_or_b64 s[20:21], vcc, s[20:21]
	v_mov_b32_e32 v2, v0
	s_andn2_b64 exec, exec, s[20:21]
	s_cbranch_execnz .LBB3_207
.LBB3_208:
	s_or_b64 exec, exec, s[18:19]
	v_mov_b32_e32 v3, 0
	global_load_dwordx2 v[0:1], v3, s[14:15] offset:16
	s_mov_b64 s[18:19], exec
	v_mbcnt_lo_u32_b32 v2, s18, 0
	v_mbcnt_hi_u32_b32 v2, s19, v2
	v_cmp_eq_u32_e32 vcc, 0, v2
	s_and_saveexec_b64 s[20:21], vcc
	s_cbranch_execz .LBB3_210
; %bb.209:
	s_bcnt1_i32_b64 s18, s[18:19]
	v_mov_b32_e32 v2, s18
	s_waitcnt vmcnt(0)
	global_atomic_add_x2 v[0:1], v[2:3], off offset:8
.LBB3_210:
	s_or_b64 exec, exec, s[20:21]
	s_waitcnt vmcnt(0)
	global_load_dwordx2 v[2:3], v[0:1], off offset:16
	s_waitcnt vmcnt(0)
	v_cmp_eq_u64_e32 vcc, 0, v[2:3]
	s_cbranch_vccnz .LBB3_212
; %bb.211:
	global_load_dword v0, v[0:1], off offset:24
	v_mov_b32_e32 v1, 0
	s_waitcnt vmcnt(0)
	v_readfirstlane_b32 s18, v0
	s_and_b32 m0, s18, 0xffffff
	global_store_dwordx2 v[2:3], v[0:1], off
	s_sendmsg sendmsg(MSG_INTERRUPT)
.LBB3_212:
	s_or_b64 exec, exec, s[16:17]
	s_branch .LBB3_216
.LBB3_213:                              ;   in Loop: Header=BB3_216 Depth=1
	s_or_b64 exec, exec, s[16:17]
	v_readfirstlane_b32 s16, v0
	s_cmp_eq_u32 s16, 0
	s_cbranch_scc1 .LBB3_215
; %bb.214:                              ;   in Loop: Header=BB3_216 Depth=1
	s_sleep 1
	s_cbranch_execnz .LBB3_216
	s_branch .LBB3_218
.LBB3_215:
	s_branch .LBB3_218
.LBB3_216:                              ; =>This Inner Loop Header: Depth=1
	v_mov_b32_e32 v0, 1
	s_and_saveexec_b64 s[16:17], s[0:1]
	s_cbranch_execz .LBB3_213
; %bb.217:                              ;   in Loop: Header=BB3_216 Depth=1
	global_load_dword v0, v[7:8], off offset:20 glc
	s_waitcnt vmcnt(0)
	buffer_wbinvl1_vol
	v_and_b32_e32 v0, 1, v0
	s_branch .LBB3_213
.LBB3_218:
	global_load_dwordx2 v[0:1], v[9:10], off
	s_and_saveexec_b64 s[16:17], s[0:1]
	s_cbranch_execz .LBB3_221
; %bb.219:
	v_mov_b32_e32 v8, 0
	global_load_dwordx2 v[2:3], v8, s[14:15] offset:40
	global_load_dwordx2 v[11:12], v8, s[14:15] offset:24 glc
	global_load_dwordx2 v[4:5], v8, s[14:15]
	s_waitcnt vmcnt(2)
	v_readfirstlane_b32 s18, v2
	v_readfirstlane_b32 s19, v3
	s_add_u32 s20, s18, 1
	s_addc_u32 s21, s19, 0
	s_add_u32 s0, s20, s2
	s_addc_u32 s1, s21, s3
	s_cmp_eq_u64 s[0:1], 0
	s_cselect_b32 s1, s21, s1
	s_cselect_b32 s0, s20, s0
	s_and_b64 s[2:3], s[0:1], s[18:19]
	s_mul_i32 s3, s3, 24
	s_mul_hi_u32 s18, s2, 24
	s_mul_i32 s2, s2, 24
	s_add_i32 s3, s18, s3
	v_mov_b32_e32 v2, s3
	s_waitcnt vmcnt(0)
	v_add_co_u32_e32 v6, vcc, s2, v4
	v_addc_co_u32_e32 v7, vcc, v5, v2, vcc
	v_mov_b32_e32 v9, s0
	global_store_dwordx2 v[6:7], v[11:12], off
	v_mov_b32_e32 v10, s1
	s_waitcnt vmcnt(0)
	global_atomic_cmpswap_x2 v[4:5], v8, v[9:12], s[14:15] offset:24 glc
	s_mov_b64 s[2:3], 0
	s_waitcnt vmcnt(0)
	v_cmp_ne_u64_e32 vcc, v[4:5], v[11:12]
	s_and_b64 exec, exec, vcc
	s_cbranch_execz .LBB3_221
.LBB3_220:                              ; =>This Inner Loop Header: Depth=1
	s_sleep 1
	global_store_dwordx2 v[6:7], v[4:5], off
	v_mov_b32_e32 v2, s0
	v_mov_b32_e32 v3, s1
	s_waitcnt vmcnt(0)
	global_atomic_cmpswap_x2 v[2:3], v8, v[2:5], s[14:15] offset:24 glc
	s_waitcnt vmcnt(0)
	v_cmp_eq_u64_e32 vcc, v[2:3], v[4:5]
	v_mov_b32_e32 v5, v3
	s_or_b64 s[2:3], vcc, s[2:3]
	v_mov_b32_e32 v4, v2
	s_andn2_b64 exec, exec, s[2:3]
	s_cbranch_execnz .LBB3_220
.LBB3_221:
	s_or_b64 exec, exec, s[16:17]
	s_getpc_b64 s[2:3]
	s_add_u32 s2, s2, .str.1@rel32@lo+4
	s_addc_u32 s3, s3, .str.1@rel32@hi+12
	s_cmp_lg_u64 s[2:3], 0
	s_cbranch_scc0 .LBB3_307
; %bb.222:
	s_waitcnt vmcnt(0)
	v_and_b32_e32 v31, 2, v0
	v_mov_b32_e32 v26, 0
	v_and_b32_e32 v2, -3, v0
	v_mov_b32_e32 v3, v1
	s_mov_b64 s[16:17], 48
	v_mov_b32_e32 v8, 2
	v_mov_b32_e32 v9, 1
	s_branch .LBB3_224
.LBB3_223:                              ;   in Loop: Header=BB3_224 Depth=1
	s_or_b64 exec, exec, s[22:23]
	s_sub_u32 s16, s16, s18
	s_subb_u32 s17, s17, s19
	s_add_u32 s2, s2, s18
	s_addc_u32 s3, s3, s19
	s_cmp_lg_u64 s[16:17], 0
	s_cbranch_scc0 .LBB3_306
.LBB3_224:                              ; =>This Loop Header: Depth=1
                                        ;     Child Loop BB3_227 Depth 2
                                        ;     Child Loop BB3_235 Depth 2
	;; [unrolled: 1-line block ×11, first 2 shown]
	v_cmp_lt_u64_e64 s[0:1], s[16:17], 56
	v_cmp_gt_u64_e64 s[20:21], s[16:17], 7
	s_and_b64 s[0:1], s[0:1], exec
	s_cselect_b32 s19, s17, 0
	s_cselect_b32 s18, s16, 56
	s_add_u32 s0, s2, 8
	s_addc_u32 s1, s3, 0
	s_and_b64 vcc, exec, s[20:21]
	s_cbranch_vccnz .LBB3_228
; %bb.225:                              ;   in Loop: Header=BB3_224 Depth=1
	s_cmp_eq_u64 s[16:17], 0
	s_cbranch_scc1 .LBB3_229
; %bb.226:                              ;   in Loop: Header=BB3_224 Depth=1
	v_mov_b32_e32 v4, 0
	s_lshl_b64 s[0:1], s[18:19], 3
	s_mov_b64 s[20:21], 0
	v_mov_b32_e32 v5, 0
	s_mov_b64 s[22:23], s[2:3]
.LBB3_227:                              ;   Parent Loop BB3_224 Depth=1
                                        ; =>  This Inner Loop Header: Depth=2
	global_load_ubyte v6, v26, s[22:23]
	s_waitcnt vmcnt(0)
	v_and_b32_e32 v25, 0xffff, v6
	v_lshlrev_b64 v[6:7], s20, v[25:26]
	s_add_u32 s20, s20, 8
	s_addc_u32 s21, s21, 0
	s_add_u32 s22, s22, 1
	s_addc_u32 s23, s23, 0
	v_or_b32_e32 v4, v6, v4
	s_cmp_lg_u32 s0, s20
	v_or_b32_e32 v5, v7, v5
	s_cbranch_scc1 .LBB3_227
	s_branch .LBB3_230
.LBB3_228:                              ;   in Loop: Header=BB3_224 Depth=1
	s_mov_b32 s24, 0
	s_branch .LBB3_231
.LBB3_229:                              ;   in Loop: Header=BB3_224 Depth=1
	v_mov_b32_e32 v4, 0
	v_mov_b32_e32 v5, 0
.LBB3_230:                              ;   in Loop: Header=BB3_224 Depth=1
	s_mov_b64 s[0:1], s[2:3]
	s_mov_b32 s24, 0
	s_cbranch_execnz .LBB3_232
.LBB3_231:                              ;   in Loop: Header=BB3_224 Depth=1
	global_load_dwordx2 v[4:5], v26, s[2:3]
	s_add_i32 s24, s18, -8
.LBB3_232:                              ;   in Loop: Header=BB3_224 Depth=1
	s_add_u32 s20, s0, 8
	s_addc_u32 s21, s1, 0
	s_cmp_gt_u32 s24, 7
	s_cbranch_scc1 .LBB3_236
; %bb.233:                              ;   in Loop: Header=BB3_224 Depth=1
	s_cmp_eq_u32 s24, 0
	s_cbranch_scc1 .LBB3_237
; %bb.234:                              ;   in Loop: Header=BB3_224 Depth=1
	v_mov_b32_e32 v10, 0
	s_mov_b64 s[20:21], 0
	v_mov_b32_e32 v11, 0
	s_mov_b64 s[22:23], 0
.LBB3_235:                              ;   Parent Loop BB3_224 Depth=1
                                        ; =>  This Inner Loop Header: Depth=2
	s_add_u32 s26, s0, s22
	s_addc_u32 s27, s1, s23
	global_load_ubyte v6, v26, s[26:27]
	s_add_u32 s22, s22, 1
	s_addc_u32 s23, s23, 0
	s_waitcnt vmcnt(0)
	v_and_b32_e32 v25, 0xffff, v6
	v_lshlrev_b64 v[6:7], s20, v[25:26]
	s_add_u32 s20, s20, 8
	s_addc_u32 s21, s21, 0
	v_or_b32_e32 v10, v6, v10
	s_cmp_lg_u32 s24, s22
	v_or_b32_e32 v11, v7, v11
	s_cbranch_scc1 .LBB3_235
	s_branch .LBB3_238
.LBB3_236:                              ;   in Loop: Header=BB3_224 Depth=1
                                        ; implicit-def: $vgpr10_vgpr11
	s_mov_b32 s25, 0
	s_branch .LBB3_239
.LBB3_237:                              ;   in Loop: Header=BB3_224 Depth=1
	v_mov_b32_e32 v10, 0
	v_mov_b32_e32 v11, 0
.LBB3_238:                              ;   in Loop: Header=BB3_224 Depth=1
	s_mov_b64 s[20:21], s[0:1]
	s_mov_b32 s25, 0
	s_cbranch_execnz .LBB3_240
.LBB3_239:                              ;   in Loop: Header=BB3_224 Depth=1
	global_load_dwordx2 v[10:11], v26, s[0:1]
	s_add_i32 s25, s24, -8
.LBB3_240:                              ;   in Loop: Header=BB3_224 Depth=1
	s_add_u32 s0, s20, 8
	s_addc_u32 s1, s21, 0
	s_cmp_gt_u32 s25, 7
	s_cbranch_scc1 .LBB3_244
; %bb.241:                              ;   in Loop: Header=BB3_224 Depth=1
	s_cmp_eq_u32 s25, 0
	s_cbranch_scc1 .LBB3_245
; %bb.242:                              ;   in Loop: Header=BB3_224 Depth=1
	v_mov_b32_e32 v12, 0
	s_mov_b64 s[0:1], 0
	v_mov_b32_e32 v13, 0
	s_mov_b64 s[22:23], 0
.LBB3_243:                              ;   Parent Loop BB3_224 Depth=1
                                        ; =>  This Inner Loop Header: Depth=2
	s_add_u32 s26, s20, s22
	s_addc_u32 s27, s21, s23
	global_load_ubyte v6, v26, s[26:27]
	s_add_u32 s22, s22, 1
	s_addc_u32 s23, s23, 0
	s_waitcnt vmcnt(0)
	v_and_b32_e32 v25, 0xffff, v6
	v_lshlrev_b64 v[6:7], s0, v[25:26]
	s_add_u32 s0, s0, 8
	s_addc_u32 s1, s1, 0
	v_or_b32_e32 v12, v6, v12
	s_cmp_lg_u32 s25, s22
	v_or_b32_e32 v13, v7, v13
	s_cbranch_scc1 .LBB3_243
	s_branch .LBB3_246
.LBB3_244:                              ;   in Loop: Header=BB3_224 Depth=1
	s_mov_b32 s24, 0
	s_branch .LBB3_247
.LBB3_245:                              ;   in Loop: Header=BB3_224 Depth=1
	v_mov_b32_e32 v12, 0
	v_mov_b32_e32 v13, 0
.LBB3_246:                              ;   in Loop: Header=BB3_224 Depth=1
	s_mov_b64 s[0:1], s[20:21]
	s_mov_b32 s24, 0
	s_cbranch_execnz .LBB3_248
.LBB3_247:                              ;   in Loop: Header=BB3_224 Depth=1
	global_load_dwordx2 v[12:13], v26, s[20:21]
	s_add_i32 s24, s25, -8
.LBB3_248:                              ;   in Loop: Header=BB3_224 Depth=1
	s_add_u32 s20, s0, 8
	s_addc_u32 s21, s1, 0
	s_cmp_gt_u32 s24, 7
	s_cbranch_scc1 .LBB3_252
; %bb.249:                              ;   in Loop: Header=BB3_224 Depth=1
	s_cmp_eq_u32 s24, 0
	s_cbranch_scc1 .LBB3_253
; %bb.250:                              ;   in Loop: Header=BB3_224 Depth=1
	v_mov_b32_e32 v14, 0
	s_mov_b64 s[20:21], 0
	v_mov_b32_e32 v15, 0
	s_mov_b64 s[22:23], 0
.LBB3_251:                              ;   Parent Loop BB3_224 Depth=1
                                        ; =>  This Inner Loop Header: Depth=2
	s_add_u32 s26, s0, s22
	s_addc_u32 s27, s1, s23
	global_load_ubyte v6, v26, s[26:27]
	s_add_u32 s22, s22, 1
	s_addc_u32 s23, s23, 0
	s_waitcnt vmcnt(0)
	v_and_b32_e32 v25, 0xffff, v6
	v_lshlrev_b64 v[6:7], s20, v[25:26]
	s_add_u32 s20, s20, 8
	s_addc_u32 s21, s21, 0
	v_or_b32_e32 v14, v6, v14
	s_cmp_lg_u32 s24, s22
	v_or_b32_e32 v15, v7, v15
	s_cbranch_scc1 .LBB3_251
	s_branch .LBB3_254
.LBB3_252:                              ;   in Loop: Header=BB3_224 Depth=1
                                        ; implicit-def: $vgpr14_vgpr15
	s_mov_b32 s25, 0
	s_branch .LBB3_255
.LBB3_253:                              ;   in Loop: Header=BB3_224 Depth=1
	v_mov_b32_e32 v14, 0
	v_mov_b32_e32 v15, 0
.LBB3_254:                              ;   in Loop: Header=BB3_224 Depth=1
	s_mov_b64 s[20:21], s[0:1]
	s_mov_b32 s25, 0
	s_cbranch_execnz .LBB3_256
.LBB3_255:                              ;   in Loop: Header=BB3_224 Depth=1
	global_load_dwordx2 v[14:15], v26, s[0:1]
	s_add_i32 s25, s24, -8
.LBB3_256:                              ;   in Loop: Header=BB3_224 Depth=1
	s_add_u32 s0, s20, 8
	s_addc_u32 s1, s21, 0
	s_cmp_gt_u32 s25, 7
	s_cbranch_scc1 .LBB3_260
; %bb.257:                              ;   in Loop: Header=BB3_224 Depth=1
	s_cmp_eq_u32 s25, 0
	s_cbranch_scc1 .LBB3_261
; %bb.258:                              ;   in Loop: Header=BB3_224 Depth=1
	v_mov_b32_e32 v16, 0
	s_mov_b64 s[0:1], 0
	v_mov_b32_e32 v17, 0
	s_mov_b64 s[22:23], 0
.LBB3_259:                              ;   Parent Loop BB3_224 Depth=1
                                        ; =>  This Inner Loop Header: Depth=2
	s_add_u32 s26, s20, s22
	s_addc_u32 s27, s21, s23
	global_load_ubyte v6, v26, s[26:27]
	s_add_u32 s22, s22, 1
	s_addc_u32 s23, s23, 0
	s_waitcnt vmcnt(0)
	v_and_b32_e32 v25, 0xffff, v6
	v_lshlrev_b64 v[6:7], s0, v[25:26]
	s_add_u32 s0, s0, 8
	s_addc_u32 s1, s1, 0
	v_or_b32_e32 v16, v6, v16
	s_cmp_lg_u32 s25, s22
	v_or_b32_e32 v17, v7, v17
	s_cbranch_scc1 .LBB3_259
	s_branch .LBB3_262
.LBB3_260:                              ;   in Loop: Header=BB3_224 Depth=1
	s_mov_b32 s24, 0
	s_branch .LBB3_263
.LBB3_261:                              ;   in Loop: Header=BB3_224 Depth=1
	v_mov_b32_e32 v16, 0
	v_mov_b32_e32 v17, 0
.LBB3_262:                              ;   in Loop: Header=BB3_224 Depth=1
	s_mov_b64 s[0:1], s[20:21]
	s_mov_b32 s24, 0
	s_cbranch_execnz .LBB3_264
.LBB3_263:                              ;   in Loop: Header=BB3_224 Depth=1
	global_load_dwordx2 v[16:17], v26, s[20:21]
	s_add_i32 s24, s25, -8
.LBB3_264:                              ;   in Loop: Header=BB3_224 Depth=1
	s_add_u32 s20, s0, 8
	s_addc_u32 s21, s1, 0
	s_cmp_gt_u32 s24, 7
	s_cbranch_scc1 .LBB3_268
; %bb.265:                              ;   in Loop: Header=BB3_224 Depth=1
	s_cmp_eq_u32 s24, 0
	s_cbranch_scc1 .LBB3_269
; %bb.266:                              ;   in Loop: Header=BB3_224 Depth=1
	v_mov_b32_e32 v18, 0
	s_mov_b64 s[20:21], 0
	v_mov_b32_e32 v19, 0
	s_mov_b64 s[22:23], 0
.LBB3_267:                              ;   Parent Loop BB3_224 Depth=1
                                        ; =>  This Inner Loop Header: Depth=2
	s_add_u32 s26, s0, s22
	s_addc_u32 s27, s1, s23
	global_load_ubyte v6, v26, s[26:27]
	s_add_u32 s22, s22, 1
	s_addc_u32 s23, s23, 0
	s_waitcnt vmcnt(0)
	v_and_b32_e32 v25, 0xffff, v6
	v_lshlrev_b64 v[6:7], s20, v[25:26]
	s_add_u32 s20, s20, 8
	s_addc_u32 s21, s21, 0
	v_or_b32_e32 v18, v6, v18
	s_cmp_lg_u32 s24, s22
	v_or_b32_e32 v19, v7, v19
	s_cbranch_scc1 .LBB3_267
	s_branch .LBB3_270
.LBB3_268:                              ;   in Loop: Header=BB3_224 Depth=1
                                        ; implicit-def: $vgpr18_vgpr19
	s_mov_b32 s25, 0
	s_branch .LBB3_271
.LBB3_269:                              ;   in Loop: Header=BB3_224 Depth=1
	v_mov_b32_e32 v18, 0
	v_mov_b32_e32 v19, 0
.LBB3_270:                              ;   in Loop: Header=BB3_224 Depth=1
	s_mov_b64 s[20:21], s[0:1]
	s_mov_b32 s25, 0
	s_cbranch_execnz .LBB3_272
.LBB3_271:                              ;   in Loop: Header=BB3_224 Depth=1
	global_load_dwordx2 v[18:19], v26, s[0:1]
	s_add_i32 s25, s24, -8
.LBB3_272:                              ;   in Loop: Header=BB3_224 Depth=1
	s_cmp_gt_u32 s25, 7
	s_cbranch_scc1 .LBB3_276
; %bb.273:                              ;   in Loop: Header=BB3_224 Depth=1
	s_cmp_eq_u32 s25, 0
	s_cbranch_scc1 .LBB3_277
; %bb.274:                              ;   in Loop: Header=BB3_224 Depth=1
	v_mov_b32_e32 v20, 0
	s_mov_b64 s[0:1], 0
	v_mov_b32_e32 v21, 0
	s_mov_b64 s[22:23], s[20:21]
.LBB3_275:                              ;   Parent Loop BB3_224 Depth=1
                                        ; =>  This Inner Loop Header: Depth=2
	global_load_ubyte v6, v26, s[22:23]
	s_add_i32 s25, s25, -1
	s_waitcnt vmcnt(0)
	v_and_b32_e32 v25, 0xffff, v6
	v_lshlrev_b64 v[6:7], s0, v[25:26]
	s_add_u32 s0, s0, 8
	s_addc_u32 s1, s1, 0
	s_add_u32 s22, s22, 1
	s_addc_u32 s23, s23, 0
	v_or_b32_e32 v20, v6, v20
	s_cmp_lg_u32 s25, 0
	v_or_b32_e32 v21, v7, v21
	s_cbranch_scc1 .LBB3_275
	s_branch .LBB3_278
.LBB3_276:                              ;   in Loop: Header=BB3_224 Depth=1
	s_branch .LBB3_279
.LBB3_277:                              ;   in Loop: Header=BB3_224 Depth=1
	v_mov_b32_e32 v20, 0
	v_mov_b32_e32 v21, 0
.LBB3_278:                              ;   in Loop: Header=BB3_224 Depth=1
	s_cbranch_execnz .LBB3_280
.LBB3_279:                              ;   in Loop: Header=BB3_224 Depth=1
	global_load_dwordx2 v[20:21], v26, s[20:21]
.LBB3_280:                              ;   in Loop: Header=BB3_224 Depth=1
	v_readfirstlane_b32 s0, v30
	v_mov_b32_e32 v6, 0
	v_mov_b32_e32 v7, 0
	v_cmp_eq_u32_e64 s[0:1], s0, v30
	s_and_saveexec_b64 s[20:21], s[0:1]
	s_cbranch_execz .LBB3_286
; %bb.281:                              ;   in Loop: Header=BB3_224 Depth=1
	global_load_dwordx2 v[24:25], v26, s[14:15] offset:24 glc
	s_waitcnt vmcnt(0)
	buffer_wbinvl1_vol
	global_load_dwordx2 v[6:7], v26, s[14:15] offset:40
	global_load_dwordx2 v[22:23], v26, s[14:15]
	s_waitcnt vmcnt(1)
	v_and_b32_e32 v6, v6, v24
	v_and_b32_e32 v7, v7, v25
	v_mul_lo_u32 v7, v7, 24
	v_mul_hi_u32 v27, v6, 24
	v_mul_lo_u32 v6, v6, 24
	v_add_u32_e32 v7, v27, v7
	s_waitcnt vmcnt(0)
	v_add_co_u32_e32 v6, vcc, v22, v6
	v_addc_co_u32_e32 v7, vcc, v23, v7, vcc
	global_load_dwordx2 v[22:23], v[6:7], off glc
	s_waitcnt vmcnt(0)
	global_atomic_cmpswap_x2 v[6:7], v26, v[22:25], s[14:15] offset:24 glc
	s_waitcnt vmcnt(0)
	buffer_wbinvl1_vol
	v_cmp_ne_u64_e32 vcc, v[6:7], v[24:25]
	s_and_saveexec_b64 s[22:23], vcc
	s_cbranch_execz .LBB3_285
; %bb.282:                              ;   in Loop: Header=BB3_224 Depth=1
	s_mov_b64 s[24:25], 0
.LBB3_283:                              ;   Parent Loop BB3_224 Depth=1
                                        ; =>  This Inner Loop Header: Depth=2
	s_sleep 1
	global_load_dwordx2 v[22:23], v26, s[14:15] offset:40
	global_load_dwordx2 v[27:28], v26, s[14:15]
	v_mov_b32_e32 v25, v7
	v_mov_b32_e32 v24, v6
	s_waitcnt vmcnt(1)
	v_and_b32_e32 v6, v22, v24
	s_waitcnt vmcnt(0)
	v_mad_u64_u32 v[6:7], s[26:27], v6, 24, v[27:28]
	v_and_b32_e32 v22, v23, v25
	v_mad_u64_u32 v[22:23], s[26:27], v22, 24, v[7:8]
	v_mov_b32_e32 v7, v22
	global_load_dwordx2 v[22:23], v[6:7], off glc
	s_waitcnt vmcnt(0)
	global_atomic_cmpswap_x2 v[6:7], v26, v[22:25], s[14:15] offset:24 glc
	s_waitcnt vmcnt(0)
	buffer_wbinvl1_vol
	v_cmp_eq_u64_e32 vcc, v[6:7], v[24:25]
	s_or_b64 s[24:25], vcc, s[24:25]
	s_andn2_b64 exec, exec, s[24:25]
	s_cbranch_execnz .LBB3_283
; %bb.284:                              ;   in Loop: Header=BB3_224 Depth=1
	s_or_b64 exec, exec, s[24:25]
.LBB3_285:                              ;   in Loop: Header=BB3_224 Depth=1
	s_or_b64 exec, exec, s[22:23]
.LBB3_286:                              ;   in Loop: Header=BB3_224 Depth=1
	s_or_b64 exec, exec, s[20:21]
	global_load_dwordx2 v[27:28], v26, s[14:15] offset:40
	global_load_dwordx4 v[22:25], v26, s[14:15]
	v_readfirstlane_b32 s21, v7
	v_readfirstlane_b32 s20, v6
	s_mov_b64 s[22:23], exec
	s_waitcnt vmcnt(1)
	v_readfirstlane_b32 s24, v27
	v_readfirstlane_b32 s25, v28
	s_and_b64 s[24:25], s[24:25], s[20:21]
	s_mul_i32 s26, s25, 24
	s_mul_hi_u32 s27, s24, 24
	s_mul_i32 s28, s24, 24
	s_add_i32 s26, s27, s26
	v_mov_b32_e32 v6, s26
	s_waitcnt vmcnt(0)
	v_add_co_u32_e32 v27, vcc, s28, v22
	v_addc_co_u32_e32 v28, vcc, v23, v6, vcc
	s_and_saveexec_b64 s[26:27], s[0:1]
	s_cbranch_execz .LBB3_288
; %bb.287:                              ;   in Loop: Header=BB3_224 Depth=1
	v_mov_b32_e32 v6, s22
	v_mov_b32_e32 v7, s23
	global_store_dwordx4 v[27:28], v[6:9], off offset:8
.LBB3_288:                              ;   in Loop: Header=BB3_224 Depth=1
	s_or_b64 exec, exec, s[26:27]
	s_lshl_b64 s[22:23], s[24:25], 12
	v_mov_b32_e32 v6, s23
	v_add_co_u32_e32 v24, vcc, s22, v24
	v_addc_co_u32_e32 v33, vcc, v25, v6, vcc
	v_cmp_lt_u64_e64 vcc, s[16:17], 57
	s_lshl_b32 s22, s18, 2
	v_cndmask_b32_e32 v6, 0, v31, vcc
	s_add_i32 s22, s22, 28
	v_and_b32_e32 v2, 0xffffff1f, v2
	s_and_b32 s22, s22, 0x1e0
	v_or_b32_e32 v2, v2, v6
	v_or_b32_e32 v2, s22, v2
	v_readfirstlane_b32 s22, v24
	v_readfirstlane_b32 s23, v33
	s_nop 4
	global_store_dwordx4 v29, v[2:5], s[22:23]
	global_store_dwordx4 v29, v[10:13], s[22:23] offset:16
	global_store_dwordx4 v29, v[14:17], s[22:23] offset:32
	global_store_dwordx4 v29, v[18:21], s[22:23] offset:48
	s_and_saveexec_b64 s[22:23], s[0:1]
	s_cbranch_execz .LBB3_296
; %bb.289:                              ;   in Loop: Header=BB3_224 Depth=1
	global_load_dwordx2 v[12:13], v26, s[14:15] offset:32 glc
	global_load_dwordx2 v[2:3], v26, s[14:15] offset:40
	v_mov_b32_e32 v10, s20
	v_mov_b32_e32 v11, s21
	s_waitcnt vmcnt(0)
	v_readfirstlane_b32 s24, v2
	v_readfirstlane_b32 s25, v3
	s_and_b64 s[24:25], s[24:25], s[20:21]
	s_mul_i32 s25, s25, 24
	s_mul_hi_u32 s26, s24, 24
	s_mul_i32 s24, s24, 24
	s_add_i32 s25, s26, s25
	v_mov_b32_e32 v2, s25
	v_add_co_u32_e32 v6, vcc, s24, v22
	v_addc_co_u32_e32 v7, vcc, v23, v2, vcc
	global_store_dwordx2 v[6:7], v[12:13], off
	s_waitcnt vmcnt(0)
	global_atomic_cmpswap_x2 v[4:5], v26, v[10:13], s[14:15] offset:32 glc
	s_waitcnt vmcnt(0)
	v_cmp_ne_u64_e32 vcc, v[4:5], v[12:13]
	s_and_saveexec_b64 s[24:25], vcc
	s_cbranch_execz .LBB3_292
; %bb.290:                              ;   in Loop: Header=BB3_224 Depth=1
	s_mov_b64 s[26:27], 0
.LBB3_291:                              ;   Parent Loop BB3_224 Depth=1
                                        ; =>  This Inner Loop Header: Depth=2
	s_sleep 1
	global_store_dwordx2 v[6:7], v[4:5], off
	v_mov_b32_e32 v2, s20
	v_mov_b32_e32 v3, s21
	s_waitcnt vmcnt(0)
	global_atomic_cmpswap_x2 v[2:3], v26, v[2:5], s[14:15] offset:32 glc
	s_waitcnt vmcnt(0)
	v_cmp_eq_u64_e32 vcc, v[2:3], v[4:5]
	v_mov_b32_e32 v5, v3
	s_or_b64 s[26:27], vcc, s[26:27]
	v_mov_b32_e32 v4, v2
	s_andn2_b64 exec, exec, s[26:27]
	s_cbranch_execnz .LBB3_291
.LBB3_292:                              ;   in Loop: Header=BB3_224 Depth=1
	s_or_b64 exec, exec, s[24:25]
	global_load_dwordx2 v[2:3], v26, s[14:15] offset:16
	s_mov_b64 s[26:27], exec
	v_mbcnt_lo_u32_b32 v4, s26, 0
	v_mbcnt_hi_u32_b32 v4, s27, v4
	v_cmp_eq_u32_e32 vcc, 0, v4
	s_and_saveexec_b64 s[24:25], vcc
	s_cbranch_execz .LBB3_294
; %bb.293:                              ;   in Loop: Header=BB3_224 Depth=1
	s_bcnt1_i32_b64 s26, s[26:27]
	v_mov_b32_e32 v25, s26
	s_waitcnt vmcnt(0)
	global_atomic_add_x2 v[2:3], v[25:26], off offset:8
.LBB3_294:                              ;   in Loop: Header=BB3_224 Depth=1
	s_or_b64 exec, exec, s[24:25]
	s_waitcnt vmcnt(0)
	global_load_dwordx2 v[4:5], v[2:3], off offset:16
	s_waitcnt vmcnt(0)
	v_cmp_eq_u64_e32 vcc, 0, v[4:5]
	s_cbranch_vccnz .LBB3_296
; %bb.295:                              ;   in Loop: Header=BB3_224 Depth=1
	global_load_dword v25, v[2:3], off offset:24
	s_waitcnt vmcnt(0)
	v_readfirstlane_b32 s24, v25
	s_and_b32 m0, s24, 0xffffff
	global_store_dwordx2 v[4:5], v[25:26], off
	s_sendmsg sendmsg(MSG_INTERRUPT)
.LBB3_296:                              ;   in Loop: Header=BB3_224 Depth=1
	s_or_b64 exec, exec, s[22:23]
	v_add_co_u32_e32 v2, vcc, v24, v29
	v_addc_co_u32_e32 v3, vcc, 0, v33, vcc
	s_branch .LBB3_300
.LBB3_297:                              ;   in Loop: Header=BB3_300 Depth=2
	s_or_b64 exec, exec, s[22:23]
	v_readfirstlane_b32 s22, v4
	s_cmp_eq_u32 s22, 0
	s_cbranch_scc1 .LBB3_299
; %bb.298:                              ;   in Loop: Header=BB3_300 Depth=2
	s_sleep 1
	s_cbranch_execnz .LBB3_300
	s_branch .LBB3_302
.LBB3_299:                              ;   in Loop: Header=BB3_224 Depth=1
	s_branch .LBB3_302
.LBB3_300:                              ;   Parent Loop BB3_224 Depth=1
                                        ; =>  This Inner Loop Header: Depth=2
	v_mov_b32_e32 v4, 1
	s_and_saveexec_b64 s[22:23], s[0:1]
	s_cbranch_execz .LBB3_297
; %bb.301:                              ;   in Loop: Header=BB3_300 Depth=2
	global_load_dword v4, v[27:28], off offset:20 glc
	s_waitcnt vmcnt(0)
	buffer_wbinvl1_vol
	v_and_b32_e32 v4, 1, v4
	s_branch .LBB3_297
.LBB3_302:                              ;   in Loop: Header=BB3_224 Depth=1
	global_load_dwordx2 v[2:3], v[2:3], off
	s_and_saveexec_b64 s[22:23], s[0:1]
	s_cbranch_execz .LBB3_223
; %bb.303:                              ;   in Loop: Header=BB3_224 Depth=1
	global_load_dwordx2 v[4:5], v26, s[14:15] offset:40
	global_load_dwordx2 v[14:15], v26, s[14:15] offset:24 glc
	global_load_dwordx2 v[6:7], v26, s[14:15]
	s_waitcnt vmcnt(2)
	v_readfirstlane_b32 s24, v4
	v_readfirstlane_b32 s25, v5
	s_add_u32 s26, s24, 1
	s_addc_u32 s27, s25, 0
	s_add_u32 s0, s26, s20
	s_addc_u32 s1, s27, s21
	s_cmp_eq_u64 s[0:1], 0
	s_cselect_b32 s1, s27, s1
	s_cselect_b32 s0, s26, s0
	s_and_b64 s[20:21], s[0:1], s[24:25]
	s_mul_i32 s21, s21, 24
	s_mul_hi_u32 s24, s20, 24
	s_mul_i32 s20, s20, 24
	s_add_i32 s21, s24, s21
	v_mov_b32_e32 v4, s21
	s_waitcnt vmcnt(0)
	v_add_co_u32_e32 v10, vcc, s20, v6
	v_addc_co_u32_e32 v11, vcc, v7, v4, vcc
	v_mov_b32_e32 v12, s0
	global_store_dwordx2 v[10:11], v[14:15], off
	v_mov_b32_e32 v13, s1
	s_waitcnt vmcnt(0)
	global_atomic_cmpswap_x2 v[6:7], v26, v[12:15], s[14:15] offset:24 glc
	s_waitcnt vmcnt(0)
	v_cmp_ne_u64_e32 vcc, v[6:7], v[14:15]
	s_and_b64 exec, exec, vcc
	s_cbranch_execz .LBB3_223
; %bb.304:                              ;   in Loop: Header=BB3_224 Depth=1
	s_mov_b64 s[20:21], 0
.LBB3_305:                              ;   Parent Loop BB3_224 Depth=1
                                        ; =>  This Inner Loop Header: Depth=2
	s_sleep 1
	global_store_dwordx2 v[10:11], v[6:7], off
	v_mov_b32_e32 v4, s0
	v_mov_b32_e32 v5, s1
	s_waitcnt vmcnt(0)
	global_atomic_cmpswap_x2 v[4:5], v26, v[4:7], s[14:15] offset:24 glc
	s_waitcnt vmcnt(0)
	v_cmp_eq_u64_e32 vcc, v[4:5], v[6:7]
	v_mov_b32_e32 v7, v5
	s_or_b64 s[20:21], vcc, s[20:21]
	v_mov_b32_e32 v6, v4
	s_andn2_b64 exec, exec, s[20:21]
	s_cbranch_execnz .LBB3_305
	s_branch .LBB3_223
.LBB3_306:
	s_branch .LBB3_334
.LBB3_307:
                                        ; implicit-def: $vgpr2_vgpr3
	s_cbranch_execz .LBB3_334
; %bb.308:
	v_readfirstlane_b32 s0, v30
	v_mov_b32_e32 v8, 0
	v_mov_b32_e32 v9, 0
	v_cmp_eq_u32_e64 s[0:1], s0, v30
	s_and_saveexec_b64 s[2:3], s[0:1]
	s_cbranch_execz .LBB3_314
; %bb.309:
	s_waitcnt vmcnt(0)
	v_mov_b32_e32 v2, 0
	global_load_dwordx2 v[5:6], v2, s[14:15] offset:24 glc
	s_waitcnt vmcnt(0)
	buffer_wbinvl1_vol
	global_load_dwordx2 v[3:4], v2, s[14:15] offset:40
	global_load_dwordx2 v[7:8], v2, s[14:15]
	s_waitcnt vmcnt(1)
	v_and_b32_e32 v3, v3, v5
	v_and_b32_e32 v4, v4, v6
	v_mul_lo_u32 v4, v4, 24
	v_mul_hi_u32 v9, v3, 24
	v_mul_lo_u32 v3, v3, 24
	v_add_u32_e32 v4, v9, v4
	s_waitcnt vmcnt(0)
	v_add_co_u32_e32 v3, vcc, v7, v3
	v_addc_co_u32_e32 v4, vcc, v8, v4, vcc
	global_load_dwordx2 v[3:4], v[3:4], off glc
	s_waitcnt vmcnt(0)
	global_atomic_cmpswap_x2 v[8:9], v2, v[3:6], s[14:15] offset:24 glc
	s_waitcnt vmcnt(0)
	buffer_wbinvl1_vol
	v_cmp_ne_u64_e32 vcc, v[8:9], v[5:6]
	s_and_saveexec_b64 s[16:17], vcc
	s_cbranch_execz .LBB3_313
; %bb.310:
	s_mov_b64 s[18:19], 0
.LBB3_311:                              ; =>This Inner Loop Header: Depth=1
	s_sleep 1
	global_load_dwordx2 v[3:4], v2, s[14:15] offset:40
	global_load_dwordx2 v[10:11], v2, s[14:15]
	v_mov_b32_e32 v5, v8
	v_mov_b32_e32 v6, v9
	s_waitcnt vmcnt(1)
	v_and_b32_e32 v3, v3, v5
	s_waitcnt vmcnt(0)
	v_mad_u64_u32 v[7:8], s[20:21], v3, 24, v[10:11]
	v_and_b32_e32 v4, v4, v6
	v_mov_b32_e32 v3, v8
	v_mad_u64_u32 v[3:4], s[20:21], v4, 24, v[3:4]
	v_mov_b32_e32 v8, v3
	global_load_dwordx2 v[3:4], v[7:8], off glc
	s_waitcnt vmcnt(0)
	global_atomic_cmpswap_x2 v[8:9], v2, v[3:6], s[14:15] offset:24 glc
	s_waitcnt vmcnt(0)
	buffer_wbinvl1_vol
	v_cmp_eq_u64_e32 vcc, v[8:9], v[5:6]
	s_or_b64 s[18:19], vcc, s[18:19]
	s_andn2_b64 exec, exec, s[18:19]
	s_cbranch_execnz .LBB3_311
; %bb.312:
	s_or_b64 exec, exec, s[18:19]
.LBB3_313:
	s_or_b64 exec, exec, s[16:17]
.LBB3_314:
	s_or_b64 exec, exec, s[2:3]
	s_waitcnt vmcnt(0)
	v_mov_b32_e32 v2, 0
	global_load_dwordx2 v[10:11], v2, s[14:15] offset:40
	global_load_dwordx4 v[4:7], v2, s[14:15]
	v_readfirstlane_b32 s3, v9
	v_readfirstlane_b32 s2, v8
	s_mov_b64 s[16:17], exec
	s_waitcnt vmcnt(1)
	v_readfirstlane_b32 s18, v10
	v_readfirstlane_b32 s19, v11
	s_and_b64 s[18:19], s[18:19], s[2:3]
	s_mul_i32 s20, s19, 24
	s_mul_hi_u32 s21, s18, 24
	s_mul_i32 s22, s18, 24
	s_add_i32 s20, s21, s20
	v_mov_b32_e32 v3, s20
	s_waitcnt vmcnt(0)
	v_add_co_u32_e32 v8, vcc, s22, v4
	v_addc_co_u32_e32 v9, vcc, v5, v3, vcc
	s_and_saveexec_b64 s[20:21], s[0:1]
	s_cbranch_execz .LBB3_316
; %bb.315:
	v_mov_b32_e32 v10, s16
	v_mov_b32_e32 v11, s17
	;; [unrolled: 1-line block ×4, first 2 shown]
	global_store_dwordx4 v[8:9], v[10:13], off offset:8
.LBB3_316:
	s_or_b64 exec, exec, s[20:21]
	s_lshl_b64 s[16:17], s[18:19], 12
	v_mov_b32_e32 v3, s17
	v_add_co_u32_e32 v10, vcc, s16, v6
	v_addc_co_u32_e32 v11, vcc, v7, v3, vcc
	s_movk_i32 s16, 0xff1f
	v_and_or_b32 v0, v0, s16, 32
	s_mov_b32 s16, 0
	v_mov_b32_e32 v3, v2
	v_readfirstlane_b32 s20, v10
	v_readfirstlane_b32 s21, v11
	v_add_co_u32_e32 v6, vcc, v10, v29
	s_mov_b32 s17, s16
	s_mov_b32 s18, s16
	;; [unrolled: 1-line block ×3, first 2 shown]
	s_nop 0
	global_store_dwordx4 v29, v[0:3], s[20:21]
	v_addc_co_u32_e32 v7, vcc, 0, v11, vcc
	v_mov_b32_e32 v0, s16
	v_mov_b32_e32 v1, s17
	;; [unrolled: 1-line block ×4, first 2 shown]
	global_store_dwordx4 v29, v[0:3], s[20:21] offset:16
	global_store_dwordx4 v29, v[0:3], s[20:21] offset:32
	global_store_dwordx4 v29, v[0:3], s[20:21] offset:48
	s_and_saveexec_b64 s[16:17], s[0:1]
	s_cbranch_execz .LBB3_324
; %bb.317:
	v_mov_b32_e32 v10, 0
	global_load_dwordx2 v[13:14], v10, s[14:15] offset:32 glc
	global_load_dwordx2 v[0:1], v10, s[14:15] offset:40
	v_mov_b32_e32 v11, s2
	v_mov_b32_e32 v12, s3
	s_waitcnt vmcnt(0)
	v_readfirstlane_b32 s18, v0
	v_readfirstlane_b32 s19, v1
	s_and_b64 s[18:19], s[18:19], s[2:3]
	s_mul_i32 s19, s19, 24
	s_mul_hi_u32 s20, s18, 24
	s_mul_i32 s18, s18, 24
	s_add_i32 s19, s20, s19
	v_mov_b32_e32 v0, s19
	v_add_co_u32_e32 v4, vcc, s18, v4
	v_addc_co_u32_e32 v5, vcc, v5, v0, vcc
	global_store_dwordx2 v[4:5], v[13:14], off
	s_waitcnt vmcnt(0)
	global_atomic_cmpswap_x2 v[2:3], v10, v[11:14], s[14:15] offset:32 glc
	s_waitcnt vmcnt(0)
	v_cmp_ne_u64_e32 vcc, v[2:3], v[13:14]
	s_and_saveexec_b64 s[18:19], vcc
	s_cbranch_execz .LBB3_320
; %bb.318:
	s_mov_b64 s[20:21], 0
.LBB3_319:                              ; =>This Inner Loop Header: Depth=1
	s_sleep 1
	global_store_dwordx2 v[4:5], v[2:3], off
	v_mov_b32_e32 v0, s2
	v_mov_b32_e32 v1, s3
	s_waitcnt vmcnt(0)
	global_atomic_cmpswap_x2 v[0:1], v10, v[0:3], s[14:15] offset:32 glc
	s_waitcnt vmcnt(0)
	v_cmp_eq_u64_e32 vcc, v[0:1], v[2:3]
	v_mov_b32_e32 v3, v1
	s_or_b64 s[20:21], vcc, s[20:21]
	v_mov_b32_e32 v2, v0
	s_andn2_b64 exec, exec, s[20:21]
	s_cbranch_execnz .LBB3_319
.LBB3_320:
	s_or_b64 exec, exec, s[18:19]
	v_mov_b32_e32 v3, 0
	global_load_dwordx2 v[0:1], v3, s[14:15] offset:16
	s_mov_b64 s[18:19], exec
	v_mbcnt_lo_u32_b32 v2, s18, 0
	v_mbcnt_hi_u32_b32 v2, s19, v2
	v_cmp_eq_u32_e32 vcc, 0, v2
	s_and_saveexec_b64 s[20:21], vcc
	s_cbranch_execz .LBB3_322
; %bb.321:
	s_bcnt1_i32_b64 s18, s[18:19]
	v_mov_b32_e32 v2, s18
	s_waitcnt vmcnt(0)
	global_atomic_add_x2 v[0:1], v[2:3], off offset:8
.LBB3_322:
	s_or_b64 exec, exec, s[20:21]
	s_waitcnt vmcnt(0)
	global_load_dwordx2 v[2:3], v[0:1], off offset:16
	s_waitcnt vmcnt(0)
	v_cmp_eq_u64_e32 vcc, 0, v[2:3]
	s_cbranch_vccnz .LBB3_324
; %bb.323:
	global_load_dword v0, v[0:1], off offset:24
	v_mov_b32_e32 v1, 0
	s_waitcnt vmcnt(0)
	v_readfirstlane_b32 s18, v0
	s_and_b32 m0, s18, 0xffffff
	global_store_dwordx2 v[2:3], v[0:1], off
	s_sendmsg sendmsg(MSG_INTERRUPT)
.LBB3_324:
	s_or_b64 exec, exec, s[16:17]
	s_branch .LBB3_328
.LBB3_325:                              ;   in Loop: Header=BB3_328 Depth=1
	s_or_b64 exec, exec, s[16:17]
	v_readfirstlane_b32 s16, v0
	s_cmp_eq_u32 s16, 0
	s_cbranch_scc1 .LBB3_327
; %bb.326:                              ;   in Loop: Header=BB3_328 Depth=1
	s_sleep 1
	s_cbranch_execnz .LBB3_328
	s_branch .LBB3_330
.LBB3_327:
	s_branch .LBB3_330
.LBB3_328:                              ; =>This Inner Loop Header: Depth=1
	v_mov_b32_e32 v0, 1
	s_and_saveexec_b64 s[16:17], s[0:1]
	s_cbranch_execz .LBB3_325
; %bb.329:                              ;   in Loop: Header=BB3_328 Depth=1
	global_load_dword v0, v[8:9], off offset:20 glc
	s_waitcnt vmcnt(0)
	buffer_wbinvl1_vol
	v_and_b32_e32 v0, 1, v0
	s_branch .LBB3_325
.LBB3_330:
	global_load_dwordx2 v[2:3], v[6:7], off
	s_and_saveexec_b64 s[16:17], s[0:1]
	s_cbranch_execz .LBB3_333
; %bb.331:
	v_mov_b32_e32 v8, 0
	global_load_dwordx2 v[0:1], v8, s[14:15] offset:40
	global_load_dwordx2 v[11:12], v8, s[14:15] offset:24 glc
	global_load_dwordx2 v[4:5], v8, s[14:15]
	s_waitcnt vmcnt(2)
	v_readfirstlane_b32 s18, v0
	v_readfirstlane_b32 s19, v1
	s_add_u32 s20, s18, 1
	s_addc_u32 s21, s19, 0
	s_add_u32 s0, s20, s2
	s_addc_u32 s1, s21, s3
	s_cmp_eq_u64 s[0:1], 0
	s_cselect_b32 s1, s21, s1
	s_cselect_b32 s0, s20, s0
	s_and_b64 s[2:3], s[0:1], s[18:19]
	s_mul_i32 s3, s3, 24
	s_mul_hi_u32 s18, s2, 24
	s_mul_i32 s2, s2, 24
	s_add_i32 s3, s18, s3
	v_mov_b32_e32 v1, s3
	s_waitcnt vmcnt(0)
	v_add_co_u32_e32 v0, vcc, s2, v4
	v_addc_co_u32_e32 v1, vcc, v5, v1, vcc
	v_mov_b32_e32 v9, s0
	global_store_dwordx2 v[0:1], v[11:12], off
	v_mov_b32_e32 v10, s1
	s_waitcnt vmcnt(0)
	global_atomic_cmpswap_x2 v[6:7], v8, v[9:12], s[14:15] offset:24 glc
	s_mov_b64 s[2:3], 0
	s_waitcnt vmcnt(0)
	v_cmp_ne_u64_e32 vcc, v[6:7], v[11:12]
	s_and_b64 exec, exec, vcc
	s_cbranch_execz .LBB3_333
.LBB3_332:                              ; =>This Inner Loop Header: Depth=1
	s_sleep 1
	global_store_dwordx2 v[0:1], v[6:7], off
	v_mov_b32_e32 v4, s0
	v_mov_b32_e32 v5, s1
	s_waitcnt vmcnt(0)
	global_atomic_cmpswap_x2 v[4:5], v8, v[4:7], s[14:15] offset:24 glc
	s_waitcnt vmcnt(0)
	v_cmp_eq_u64_e32 vcc, v[4:5], v[6:7]
	v_mov_b32_e32 v7, v5
	s_or_b64 s[2:3], vcc, s[2:3]
	v_mov_b32_e32 v6, v4
	s_andn2_b64 exec, exec, s[2:3]
	s_cbranch_execnz .LBB3_332
.LBB3_333:
	s_or_b64 exec, exec, s[16:17]
.LBB3_334:
	v_readfirstlane_b32 s0, v30
	s_waitcnt vmcnt(0)
	v_mov_b32_e32 v0, 0
	v_mov_b32_e32 v1, 0
	v_cmp_eq_u32_e64 s[0:1], s0, v30
	s_and_saveexec_b64 s[2:3], s[0:1]
	s_cbranch_execz .LBB3_340
; %bb.335:
	v_mov_b32_e32 v4, 0
	global_load_dwordx2 v[7:8], v4, s[14:15] offset:24 glc
	s_waitcnt vmcnt(0)
	buffer_wbinvl1_vol
	global_load_dwordx2 v[0:1], v4, s[14:15] offset:40
	global_load_dwordx2 v[5:6], v4, s[14:15]
	s_waitcnt vmcnt(1)
	v_and_b32_e32 v0, v0, v7
	v_and_b32_e32 v1, v1, v8
	v_mul_lo_u32 v1, v1, 24
	v_mul_hi_u32 v9, v0, 24
	v_mul_lo_u32 v0, v0, 24
	v_add_u32_e32 v1, v9, v1
	s_waitcnt vmcnt(0)
	v_add_co_u32_e32 v0, vcc, v5, v0
	v_addc_co_u32_e32 v1, vcc, v6, v1, vcc
	global_load_dwordx2 v[5:6], v[0:1], off glc
	s_waitcnt vmcnt(0)
	global_atomic_cmpswap_x2 v[0:1], v4, v[5:8], s[14:15] offset:24 glc
	s_waitcnt vmcnt(0)
	buffer_wbinvl1_vol
	v_cmp_ne_u64_e32 vcc, v[0:1], v[7:8]
	s_and_saveexec_b64 s[16:17], vcc
	s_cbranch_execz .LBB3_339
; %bb.336:
	s_mov_b64 s[18:19], 0
.LBB3_337:                              ; =>This Inner Loop Header: Depth=1
	s_sleep 1
	global_load_dwordx2 v[5:6], v4, s[14:15] offset:40
	global_load_dwordx2 v[9:10], v4, s[14:15]
	v_mov_b32_e32 v8, v1
	v_mov_b32_e32 v7, v0
	s_waitcnt vmcnt(1)
	v_and_b32_e32 v0, v5, v7
	s_waitcnt vmcnt(0)
	v_mad_u64_u32 v[0:1], s[20:21], v0, 24, v[9:10]
	v_and_b32_e32 v5, v6, v8
	v_mad_u64_u32 v[5:6], s[20:21], v5, 24, v[1:2]
	v_mov_b32_e32 v1, v5
	global_load_dwordx2 v[5:6], v[0:1], off glc
	s_waitcnt vmcnt(0)
	global_atomic_cmpswap_x2 v[0:1], v4, v[5:8], s[14:15] offset:24 glc
	s_waitcnt vmcnt(0)
	buffer_wbinvl1_vol
	v_cmp_eq_u64_e32 vcc, v[0:1], v[7:8]
	s_or_b64 s[18:19], vcc, s[18:19]
	s_andn2_b64 exec, exec, s[18:19]
	s_cbranch_execnz .LBB3_337
; %bb.338:
	s_or_b64 exec, exec, s[18:19]
.LBB3_339:
	s_or_b64 exec, exec, s[16:17]
.LBB3_340:
	s_or_b64 exec, exec, s[2:3]
	v_mov_b32_e32 v5, 0
	global_load_dwordx2 v[10:11], v5, s[14:15] offset:40
	global_load_dwordx4 v[6:9], v5, s[14:15]
	v_readfirstlane_b32 s3, v1
	v_readfirstlane_b32 s2, v0
	s_mov_b64 s[16:17], exec
	s_waitcnt vmcnt(1)
	v_readfirstlane_b32 s18, v10
	v_readfirstlane_b32 s19, v11
	s_and_b64 s[18:19], s[18:19], s[2:3]
	s_mul_i32 s20, s19, 24
	s_mul_hi_u32 s21, s18, 24
	s_mul_i32 s22, s18, 24
	s_add_i32 s20, s21, s20
	v_mov_b32_e32 v0, s20
	s_waitcnt vmcnt(0)
	v_add_co_u32_e32 v10, vcc, s22, v6
	v_addc_co_u32_e32 v11, vcc, v7, v0, vcc
	s_and_saveexec_b64 s[20:21], s[0:1]
	s_cbranch_execz .LBB3_342
; %bb.341:
	v_mov_b32_e32 v12, s16
	v_mov_b32_e32 v13, s17
	;; [unrolled: 1-line block ×4, first 2 shown]
	global_store_dwordx4 v[10:11], v[12:15], off offset:8
.LBB3_342:
	s_or_b64 exec, exec, s[20:21]
	s_lshl_b64 s[16:17], s[18:19], 12
	v_add_co_u32_e32 v1, vcc, s16, v8
	s_mul_i32 s16, s11, s30
	s_sub_i32 s16, s10, s16
	v_mov_b32_e32 v0, s17
	s_add_i32 s17, s11, 1
	s_sub_i32 s18, s16, s30
	s_cmp_ge_u32 s16, s30
	s_cselect_b32 s11, s17, s11
	s_cselect_b32 s16, s18, s16
	s_add_i32 s17, s11, 1
	s_cmp_ge_u32 s16, s30
	v_addc_co_u32_e32 v0, vcc, v9, v0, vcc
	s_cselect_b32 s11, s17, s11
	s_movk_i32 s17, 0xff1f
	s_mov_b32 s16, 0
	v_and_or_b32 v2, v2, s17, 32
	v_add_co_u32_e32 v8, vcc, v1, v29
	v_mov_b32_e32 v4, s11
	v_readfirstlane_b32 s20, v1
	v_readfirstlane_b32 s21, v0
	v_addc_co_u32_e32 v9, vcc, 0, v0, vcc
	s_mov_b32 s17, s16
	s_mov_b32 s18, s16
	;; [unrolled: 1-line block ×3, first 2 shown]
	s_nop 0
	global_store_dwordx4 v29, v[2:5], s[20:21]
	v_mov_b32_e32 v0, s16
	v_mov_b32_e32 v1, s17
	;; [unrolled: 1-line block ×4, first 2 shown]
	global_store_dwordx4 v29, v[0:3], s[20:21] offset:16
	global_store_dwordx4 v29, v[0:3], s[20:21] offset:32
	;; [unrolled: 1-line block ×3, first 2 shown]
	s_and_saveexec_b64 s[16:17], s[0:1]
	s_cbranch_execz .LBB3_350
; %bb.343:
	v_mov_b32_e32 v12, 0
	global_load_dwordx2 v[15:16], v12, s[14:15] offset:32 glc
	global_load_dwordx2 v[0:1], v12, s[14:15] offset:40
	v_mov_b32_e32 v13, s2
	v_mov_b32_e32 v14, s3
	s_waitcnt vmcnt(0)
	v_readfirstlane_b32 s18, v0
	v_readfirstlane_b32 s19, v1
	s_and_b64 s[18:19], s[18:19], s[2:3]
	s_mul_i32 s11, s19, 24
	s_mul_hi_u32 s19, s18, 24
	s_mul_i32 s18, s18, 24
	s_add_i32 s11, s19, s11
	v_mov_b32_e32 v0, s11
	v_add_co_u32_e32 v4, vcc, s18, v6
	v_addc_co_u32_e32 v5, vcc, v7, v0, vcc
	global_store_dwordx2 v[4:5], v[15:16], off
	s_waitcnt vmcnt(0)
	global_atomic_cmpswap_x2 v[2:3], v12, v[13:16], s[14:15] offset:32 glc
	s_waitcnt vmcnt(0)
	v_cmp_ne_u64_e32 vcc, v[2:3], v[15:16]
	s_and_saveexec_b64 s[18:19], vcc
	s_cbranch_execz .LBB3_346
; %bb.344:
	s_mov_b64 s[20:21], 0
.LBB3_345:                              ; =>This Inner Loop Header: Depth=1
	s_sleep 1
	global_store_dwordx2 v[4:5], v[2:3], off
	v_mov_b32_e32 v0, s2
	v_mov_b32_e32 v1, s3
	s_waitcnt vmcnt(0)
	global_atomic_cmpswap_x2 v[0:1], v12, v[0:3], s[14:15] offset:32 glc
	s_waitcnt vmcnt(0)
	v_cmp_eq_u64_e32 vcc, v[0:1], v[2:3]
	v_mov_b32_e32 v3, v1
	s_or_b64 s[20:21], vcc, s[20:21]
	v_mov_b32_e32 v2, v0
	s_andn2_b64 exec, exec, s[20:21]
	s_cbranch_execnz .LBB3_345
.LBB3_346:
	s_or_b64 exec, exec, s[18:19]
	v_mov_b32_e32 v3, 0
	global_load_dwordx2 v[0:1], v3, s[14:15] offset:16
	s_mov_b64 s[18:19], exec
	v_mbcnt_lo_u32_b32 v2, s18, 0
	v_mbcnt_hi_u32_b32 v2, s19, v2
	v_cmp_eq_u32_e32 vcc, 0, v2
	s_and_saveexec_b64 s[20:21], vcc
	s_cbranch_execz .LBB3_348
; %bb.347:
	s_bcnt1_i32_b64 s11, s[18:19]
	v_mov_b32_e32 v2, s11
	s_waitcnt vmcnt(0)
	global_atomic_add_x2 v[0:1], v[2:3], off offset:8
.LBB3_348:
	s_or_b64 exec, exec, s[20:21]
	s_waitcnt vmcnt(0)
	global_load_dwordx2 v[2:3], v[0:1], off offset:16
	s_waitcnt vmcnt(0)
	v_cmp_eq_u64_e32 vcc, 0, v[2:3]
	s_cbranch_vccnz .LBB3_350
; %bb.349:
	global_load_dword v0, v[0:1], off offset:24
	v_mov_b32_e32 v1, 0
	s_waitcnt vmcnt(0)
	v_readfirstlane_b32 s11, v0
	s_and_b32 m0, s11, 0xffffff
	global_store_dwordx2 v[2:3], v[0:1], off
	s_sendmsg sendmsg(MSG_INTERRUPT)
.LBB3_350:
	s_or_b64 exec, exec, s[16:17]
	s_branch .LBB3_354
.LBB3_351:                              ;   in Loop: Header=BB3_354 Depth=1
	s_or_b64 exec, exec, s[16:17]
	v_readfirstlane_b32 s11, v0
	s_cmp_eq_u32 s11, 0
	s_cbranch_scc1 .LBB3_353
; %bb.352:                              ;   in Loop: Header=BB3_354 Depth=1
	s_sleep 1
	s_cbranch_execnz .LBB3_354
	s_branch .LBB3_356
.LBB3_353:
	s_branch .LBB3_356
.LBB3_354:                              ; =>This Inner Loop Header: Depth=1
	v_mov_b32_e32 v0, 1
	s_and_saveexec_b64 s[16:17], s[0:1]
	s_cbranch_execz .LBB3_351
; %bb.355:                              ;   in Loop: Header=BB3_354 Depth=1
	global_load_dword v0, v[10:11], off offset:20 glc
	s_waitcnt vmcnt(0)
	buffer_wbinvl1_vol
	v_and_b32_e32 v0, 1, v0
	s_branch .LBB3_351
.LBB3_356:
	global_load_dwordx2 v[0:1], v[8:9], off
	s_and_saveexec_b64 s[16:17], s[0:1]
	s_cbranch_execz .LBB3_359
; %bb.357:
	v_mov_b32_e32 v8, 0
	global_load_dwordx2 v[2:3], v8, s[14:15] offset:40
	global_load_dwordx2 v[11:12], v8, s[14:15] offset:24 glc
	global_load_dwordx2 v[4:5], v8, s[14:15]
	s_waitcnt vmcnt(2)
	v_readfirstlane_b32 s18, v2
	v_readfirstlane_b32 s19, v3
	s_add_u32 s11, s18, 1
	s_addc_u32 s20, s19, 0
	s_add_u32 s0, s11, s2
	s_addc_u32 s1, s20, s3
	s_cmp_eq_u64 s[0:1], 0
	s_cselect_b32 s1, s20, s1
	s_cselect_b32 s0, s11, s0
	s_and_b64 s[2:3], s[0:1], s[18:19]
	s_mul_i32 s3, s3, 24
	s_mul_hi_u32 s11, s2, 24
	s_mul_i32 s2, s2, 24
	s_add_i32 s3, s11, s3
	v_mov_b32_e32 v2, s3
	s_waitcnt vmcnt(0)
	v_add_co_u32_e32 v6, vcc, s2, v4
	v_addc_co_u32_e32 v7, vcc, v5, v2, vcc
	v_mov_b32_e32 v9, s0
	global_store_dwordx2 v[6:7], v[11:12], off
	v_mov_b32_e32 v10, s1
	s_waitcnt vmcnt(0)
	global_atomic_cmpswap_x2 v[4:5], v8, v[9:12], s[14:15] offset:24 glc
	s_mov_b64 s[2:3], 0
	s_waitcnt vmcnt(0)
	v_cmp_ne_u64_e32 vcc, v[4:5], v[11:12]
	s_and_b64 exec, exec, vcc
	s_cbranch_execz .LBB3_359
.LBB3_358:                              ; =>This Inner Loop Header: Depth=1
	s_sleep 1
	global_store_dwordx2 v[6:7], v[4:5], off
	v_mov_b32_e32 v2, s0
	v_mov_b32_e32 v3, s1
	s_waitcnt vmcnt(0)
	global_atomic_cmpswap_x2 v[2:3], v8, v[2:5], s[14:15] offset:24 glc
	s_waitcnt vmcnt(0)
	v_cmp_eq_u64_e32 vcc, v[2:3], v[4:5]
	v_mov_b32_e32 v5, v3
	s_or_b64 s[2:3], vcc, s[2:3]
	v_mov_b32_e32 v4, v2
	s_andn2_b64 exec, exec, s[2:3]
	s_cbranch_execnz .LBB3_358
.LBB3_359:
	s_or_b64 exec, exec, s[16:17]
	v_readfirstlane_b32 s0, v30
	v_mov_b32_e32 v8, 0
	v_mov_b32_e32 v9, 0
	v_cmp_eq_u32_e64 s[0:1], s0, v30
	s_and_saveexec_b64 s[2:3], s[0:1]
	s_cbranch_execz .LBB3_365
; %bb.360:
	v_mov_b32_e32 v2, 0
	global_load_dwordx2 v[5:6], v2, s[14:15] offset:24 glc
	s_waitcnt vmcnt(0)
	buffer_wbinvl1_vol
	global_load_dwordx2 v[3:4], v2, s[14:15] offset:40
	global_load_dwordx2 v[7:8], v2, s[14:15]
	s_waitcnt vmcnt(1)
	v_and_b32_e32 v3, v3, v5
	v_and_b32_e32 v4, v4, v6
	v_mul_lo_u32 v4, v4, 24
	v_mul_hi_u32 v9, v3, 24
	v_mul_lo_u32 v3, v3, 24
	v_add_u32_e32 v4, v9, v4
	s_waitcnt vmcnt(0)
	v_add_co_u32_e32 v3, vcc, v7, v3
	v_addc_co_u32_e32 v4, vcc, v8, v4, vcc
	global_load_dwordx2 v[3:4], v[3:4], off glc
	s_waitcnt vmcnt(0)
	global_atomic_cmpswap_x2 v[8:9], v2, v[3:6], s[14:15] offset:24 glc
	s_waitcnt vmcnt(0)
	buffer_wbinvl1_vol
	v_cmp_ne_u64_e32 vcc, v[8:9], v[5:6]
	s_and_saveexec_b64 s[16:17], vcc
	s_cbranch_execz .LBB3_364
; %bb.361:
	s_mov_b64 s[18:19], 0
.LBB3_362:                              ; =>This Inner Loop Header: Depth=1
	s_sleep 1
	global_load_dwordx2 v[3:4], v2, s[14:15] offset:40
	global_load_dwordx2 v[10:11], v2, s[14:15]
	v_mov_b32_e32 v5, v8
	v_mov_b32_e32 v6, v9
	s_waitcnt vmcnt(1)
	v_and_b32_e32 v3, v3, v5
	s_waitcnt vmcnt(0)
	v_mad_u64_u32 v[7:8], s[20:21], v3, 24, v[10:11]
	v_and_b32_e32 v4, v4, v6
	v_mov_b32_e32 v3, v8
	v_mad_u64_u32 v[3:4], s[20:21], v4, 24, v[3:4]
	v_mov_b32_e32 v8, v3
	global_load_dwordx2 v[3:4], v[7:8], off glc
	s_waitcnt vmcnt(0)
	global_atomic_cmpswap_x2 v[8:9], v2, v[3:6], s[14:15] offset:24 glc
	s_waitcnt vmcnt(0)
	buffer_wbinvl1_vol
	v_cmp_eq_u64_e32 vcc, v[8:9], v[5:6]
	s_or_b64 s[18:19], vcc, s[18:19]
	s_andn2_b64 exec, exec, s[18:19]
	s_cbranch_execnz .LBB3_362
; %bb.363:
	s_or_b64 exec, exec, s[18:19]
.LBB3_364:
	s_or_b64 exec, exec, s[16:17]
.LBB3_365:
	s_or_b64 exec, exec, s[2:3]
	v_mov_b32_e32 v3, 0
	global_load_dwordx2 v[10:11], v3, s[14:15] offset:40
	global_load_dwordx4 v[4:7], v3, s[14:15]
	v_readfirstlane_b32 s3, v9
	v_readfirstlane_b32 s2, v8
	s_mov_b64 s[16:17], exec
	s_waitcnt vmcnt(1)
	v_readfirstlane_b32 s18, v10
	v_readfirstlane_b32 s19, v11
	s_and_b64 s[18:19], s[18:19], s[2:3]
	s_mul_i32 s11, s19, 24
	s_mul_hi_u32 s20, s18, 24
	s_mul_i32 s21, s18, 24
	s_add_i32 s11, s20, s11
	v_mov_b32_e32 v2, s11
	s_waitcnt vmcnt(0)
	v_add_co_u32_e32 v8, vcc, s21, v4
	v_addc_co_u32_e32 v9, vcc, v5, v2, vcc
	s_and_saveexec_b64 s[20:21], s[0:1]
	s_cbranch_execz .LBB3_367
; %bb.366:
	v_mov_b32_e32 v10, s16
	v_mov_b32_e32 v11, s17
	;; [unrolled: 1-line block ×4, first 2 shown]
	global_store_dwordx4 v[8:9], v[10:13], off offset:8
.LBB3_367:
	s_or_b64 exec, exec, s[20:21]
	s_lshl_b64 s[16:17], s[18:19], 12
	v_mov_b32_e32 v2, s17
	v_add_co_u32_e32 v6, vcc, s16, v6
	v_addc_co_u32_e32 v7, vcc, v7, v2, vcc
	s_movk_i32 s11, 0xff1d
	s_mov_b32 s16, 0
	v_and_or_b32 v0, v0, s11, 34
	v_mov_b32_e32 v2, s30
	v_readfirstlane_b32 s20, v6
	v_readfirstlane_b32 s21, v7
	s_mov_b32 s17, s16
	s_mov_b32 s18, s16
	s_mov_b32 s19, s16
	s_nop 1
	global_store_dwordx4 v29, v[0:3], s[20:21]
	s_nop 0
	v_mov_b32_e32 v0, s16
	v_mov_b32_e32 v1, s17
	v_mov_b32_e32 v2, s18
	v_mov_b32_e32 v3, s19
	global_store_dwordx4 v29, v[0:3], s[20:21] offset:16
	global_store_dwordx4 v29, v[0:3], s[20:21] offset:32
	;; [unrolled: 1-line block ×3, first 2 shown]
	s_and_saveexec_b64 s[16:17], s[0:1]
	s_cbranch_execz .LBB3_375
; %bb.368:
	v_mov_b32_e32 v6, 0
	global_load_dwordx2 v[12:13], v6, s[14:15] offset:32 glc
	global_load_dwordx2 v[0:1], v6, s[14:15] offset:40
	v_mov_b32_e32 v10, s2
	v_mov_b32_e32 v11, s3
	s_waitcnt vmcnt(0)
	v_readfirstlane_b32 s18, v0
	v_readfirstlane_b32 s19, v1
	s_and_b64 s[18:19], s[18:19], s[2:3]
	s_mul_i32 s11, s19, 24
	s_mul_hi_u32 s19, s18, 24
	s_mul_i32 s18, s18, 24
	s_add_i32 s11, s19, s11
	v_mov_b32_e32 v0, s11
	v_add_co_u32_e32 v4, vcc, s18, v4
	v_addc_co_u32_e32 v5, vcc, v5, v0, vcc
	global_store_dwordx2 v[4:5], v[12:13], off
	s_waitcnt vmcnt(0)
	global_atomic_cmpswap_x2 v[2:3], v6, v[10:13], s[14:15] offset:32 glc
	s_waitcnt vmcnt(0)
	v_cmp_ne_u64_e32 vcc, v[2:3], v[12:13]
	s_and_saveexec_b64 s[18:19], vcc
	s_cbranch_execz .LBB3_371
; %bb.369:
	s_mov_b64 s[20:21], 0
.LBB3_370:                              ; =>This Inner Loop Header: Depth=1
	s_sleep 1
	global_store_dwordx2 v[4:5], v[2:3], off
	v_mov_b32_e32 v0, s2
	v_mov_b32_e32 v1, s3
	s_waitcnt vmcnt(0)
	global_atomic_cmpswap_x2 v[0:1], v6, v[0:3], s[14:15] offset:32 glc
	s_waitcnt vmcnt(0)
	v_cmp_eq_u64_e32 vcc, v[0:1], v[2:3]
	v_mov_b32_e32 v3, v1
	s_or_b64 s[20:21], vcc, s[20:21]
	v_mov_b32_e32 v2, v0
	s_andn2_b64 exec, exec, s[20:21]
	s_cbranch_execnz .LBB3_370
.LBB3_371:
	s_or_b64 exec, exec, s[18:19]
	v_mov_b32_e32 v3, 0
	global_load_dwordx2 v[0:1], v3, s[14:15] offset:16
	s_mov_b64 s[18:19], exec
	v_mbcnt_lo_u32_b32 v2, s18, 0
	v_mbcnt_hi_u32_b32 v2, s19, v2
	v_cmp_eq_u32_e32 vcc, 0, v2
	s_and_saveexec_b64 s[20:21], vcc
	s_cbranch_execz .LBB3_373
; %bb.372:
	s_bcnt1_i32_b64 s11, s[18:19]
	v_mov_b32_e32 v2, s11
	s_waitcnt vmcnt(0)
	global_atomic_add_x2 v[0:1], v[2:3], off offset:8
.LBB3_373:
	s_or_b64 exec, exec, s[20:21]
	s_waitcnt vmcnt(0)
	global_load_dwordx2 v[2:3], v[0:1], off offset:16
	s_waitcnt vmcnt(0)
	v_cmp_eq_u64_e32 vcc, 0, v[2:3]
	s_cbranch_vccnz .LBB3_375
; %bb.374:
	global_load_dword v0, v[0:1], off offset:24
	v_mov_b32_e32 v1, 0
	s_waitcnt vmcnt(0)
	v_readfirstlane_b32 s11, v0
	s_and_b32 m0, s11, 0xffffff
	global_store_dwordx2 v[2:3], v[0:1], off
	s_sendmsg sendmsg(MSG_INTERRUPT)
.LBB3_375:
	s_or_b64 exec, exec, s[16:17]
	s_branch .LBB3_379
.LBB3_376:                              ;   in Loop: Header=BB3_379 Depth=1
	s_or_b64 exec, exec, s[16:17]
	v_readfirstlane_b32 s11, v0
	s_cmp_eq_u32 s11, 0
	s_cbranch_scc1 .LBB3_378
; %bb.377:                              ;   in Loop: Header=BB3_379 Depth=1
	s_sleep 1
	s_cbranch_execnz .LBB3_379
	s_branch .LBB3_381
.LBB3_378:
	s_branch .LBB3_381
.LBB3_379:                              ; =>This Inner Loop Header: Depth=1
	v_mov_b32_e32 v0, 1
	s_and_saveexec_b64 s[16:17], s[0:1]
	s_cbranch_execz .LBB3_376
; %bb.380:                              ;   in Loop: Header=BB3_379 Depth=1
	global_load_dword v0, v[8:9], off offset:20 glc
	s_waitcnt vmcnt(0)
	buffer_wbinvl1_vol
	v_and_b32_e32 v0, 1, v0
	s_branch .LBB3_376
.LBB3_381:
	s_and_b64 exec, exec, s[0:1]
	s_cbranch_execz .LBB3_384
; %bb.382:
	v_mov_b32_e32 v6, 0
	global_load_dwordx2 v[0:1], v6, s[14:15] offset:40
	global_load_dwordx2 v[9:10], v6, s[14:15] offset:24 glc
	global_load_dwordx2 v[2:3], v6, s[14:15]
	s_waitcnt vmcnt(2)
	v_readfirstlane_b32 s16, v0
	v_readfirstlane_b32 s17, v1
	s_add_u32 s11, s16, 1
	s_addc_u32 s18, s17, 0
	s_add_u32 s0, s11, s2
	s_addc_u32 s1, s18, s3
	s_cmp_eq_u64 s[0:1], 0
	s_cselect_b32 s1, s18, s1
	s_cselect_b32 s0, s11, s0
	s_and_b64 s[2:3], s[0:1], s[16:17]
	s_mul_i32 s3, s3, 24
	s_mul_hi_u32 s11, s2, 24
	s_mul_i32 s2, s2, 24
	s_add_i32 s3, s11, s3
	v_mov_b32_e32 v0, s3
	s_waitcnt vmcnt(0)
	v_add_co_u32_e32 v4, vcc, s2, v2
	v_addc_co_u32_e32 v5, vcc, v3, v0, vcc
	v_mov_b32_e32 v7, s0
	global_store_dwordx2 v[4:5], v[9:10], off
	v_mov_b32_e32 v8, s1
	s_waitcnt vmcnt(0)
	global_atomic_cmpswap_x2 v[2:3], v6, v[7:10], s[14:15] offset:24 glc
	s_mov_b64 s[2:3], 0
	s_waitcnt vmcnt(0)
	v_cmp_ne_u64_e32 vcc, v[2:3], v[9:10]
	s_and_b64 exec, exec, vcc
	s_cbranch_execz .LBB3_384
.LBB3_383:                              ; =>This Inner Loop Header: Depth=1
	s_sleep 1
	global_store_dwordx2 v[4:5], v[2:3], off
	v_mov_b32_e32 v0, s0
	v_mov_b32_e32 v1, s1
	s_waitcnt vmcnt(0)
	global_atomic_cmpswap_x2 v[0:1], v6, v[0:3], s[14:15] offset:24 glc
	s_waitcnt vmcnt(0)
	v_cmp_eq_u64_e32 vcc, v[0:1], v[2:3]
	v_mov_b32_e32 v3, v1
	s_or_b64 s[2:3], vcc, s[2:3]
	v_mov_b32_e32 v2, v0
	s_andn2_b64 exec, exec, s[2:3]
	s_cbranch_execnz .LBB3_383
.LBB3_384:
	s_or_b64 exec, exec, s[12:13]
	s_waitcnt lgkmcnt(0)
	s_bcnt1_i32_b32 s0, s30
	s_cmp_lg_u32 s0, 1
	s_waitcnt vmcnt(0)
	buffer_wbinvl1_vol
	s_cbranch_scc1 .LBB3_395
; %bb.385:
	s_ff1_i32_b32 s11, s30
	v_lshrrev_b32_e32 v2, s11, v32
	v_mul_lo_u32 v3, v2, s30
	v_mov_b32_e32 v0, 0
	v_mov_b32_e32 v4, 0
	v_mov_b32_e32 v1, 0
	s_mov_b64 s[2:3], 0
	s_branch .LBB3_387
.LBB3_386:                              ;   in Loop: Header=BB3_387 Depth=1
	s_add_u32 s2, s2, 4
	s_addc_u32 s3, s3, 0
	s_cmp_eq_u32 s2, 64
	s_cbranch_scc1 .LBB3_396
.LBB3_387:                              ; =>This Inner Loop Header: Depth=1
	s_lshl_b64 s[0:1], 1, s2
	s_and_b64 s[12:13], s[0:1], s[6:7]
	s_cmp_eq_u64 s[12:13], 0
	s_cbranch_scc1 .LBB3_389
; %bb.388:                              ;   in Loop: Header=BB3_387 Depth=1
	v_cmp_gt_i32_e32 vcc, 1, v3
	v_cmp_gt_u32_e64 s[0:1], s30, v4
	v_mov_b32_e32 v5, s13
	s_and_b64 vcc, vcc, s[0:1]
	v_mov_b32_e32 v6, s12
	v_cndmask_b32_e32 v5, 0, v5, vcc
	v_cndmask_b32_e32 v6, 0, v6, vcc
	v_or_b32_e32 v1, v5, v1
	v_or_b32_e32 v0, v6, v0
	v_addc_co_u32_e32 v4, vcc, 0, v4, vcc
	v_add_u32_e32 v3, -1, v3
.LBB3_389:                              ;   in Loop: Header=BB3_387 Depth=1
	s_add_i32 s0, s2, 1
	s_lshl_b64 s[0:1], 1, s0
	s_and_b64 s[12:13], s[0:1], s[6:7]
	s_cmp_eq_u64 s[12:13], 0
	s_cbranch_scc1 .LBB3_391
; %bb.390:                              ;   in Loop: Header=BB3_387 Depth=1
	v_cmp_gt_i32_e32 vcc, 1, v3
	v_cmp_gt_u32_e64 s[0:1], s30, v4
	v_mov_b32_e32 v5, s13
	s_and_b64 vcc, vcc, s[0:1]
	v_mov_b32_e32 v6, s12
	v_cndmask_b32_e32 v5, 0, v5, vcc
	v_cndmask_b32_e32 v6, 0, v6, vcc
	v_or_b32_e32 v1, v5, v1
	v_or_b32_e32 v0, v6, v0
	v_addc_co_u32_e32 v4, vcc, 0, v4, vcc
	v_add_u32_e32 v3, -1, v3
.LBB3_391:                              ;   in Loop: Header=BB3_387 Depth=1
	s_add_i32 s0, s2, 2
	;; [unrolled: 18-line block ×3, first 2 shown]
	s_lshl_b64 s[0:1], 1, s0
	s_and_b64 s[12:13], s[0:1], s[6:7]
	s_cmp_eq_u64 s[12:13], 0
	s_cbranch_scc1 .LBB3_386
; %bb.394:                              ;   in Loop: Header=BB3_387 Depth=1
	v_cmp_gt_i32_e32 vcc, 1, v3
	v_cmp_gt_u32_e64 s[0:1], s30, v4
	v_mov_b32_e32 v5, s13
	s_and_b64 vcc, vcc, s[0:1]
	v_mov_b32_e32 v6, s12
	v_cndmask_b32_e32 v5, 0, v5, vcc
	v_cndmask_b32_e32 v6, 0, v6, vcc
	v_or_b32_e32 v1, v5, v1
	v_or_b32_e32 v0, v6, v0
	v_addc_co_u32_e32 v4, vcc, 0, v4, vcc
	v_add_u32_e32 v3, -1, v3
	s_branch .LBB3_386
.LBB3_395:
	v_mov_b32_e32 v0, 0
	v_mov_b32_e32 v2, 0
	s_mov_b64 s[10:11], 1
	v_mov_b32_e32 v1, 0
	v_mov_b32_e32 v3, 0
	v_mov_b32_e32 v36, 0
	s_branch .LBB3_397
.LBB3_396:
	s_add_i32 s0, s30, s10
	v_bcnt_u32_b32 v3, v0, 0
	s_add_i32 s0, s0, -1
	v_bcnt_u32_b32 v36, v1, v3
	v_mov_b32_e32 v3, 0
	s_lshr_b32 s10, s0, s11
	s_mov_b32 s11, 0
.LBB3_397:
	v_mbcnt_lo_u32_b32 v0, v0, 0
	v_mbcnt_hi_u32_b32 v6, v1, v0
	v_cmp_lt_u32_e32 vcc, 1, v36
	v_mov_b32_e32 v35, v32
	s_and_saveexec_b64 s[0:1], vcc
	s_cbranch_execz .LBB3_403
; %bb.398:
	v_sub_u32_e32 v0, v32, v6
	v_ashrrev_i32_e32 v1, 31, v0
	v_lshlrev_b64 v[0:1], 2, v[0:1]
	v_mov_b32_e32 v4, s31
	v_add_co_u32_e32 v0, vcc, s33, v0
	v_addc_co_u32_e32 v5, vcc, v4, v1, vcc
	v_lshlrev_b32_e32 v4, 2, v6
	v_add_co_u32_e32 v4, vcc, v0, v4
	v_mov_b32_e32 v1, 0
	v_addc_co_u32_e32 v5, vcc, 0, v5, vcc
	s_mov_b64 s[2:3], 0
	v_mov_b32_e32 v7, v36
	v_mov_b32_e32 v35, v32
	s_branch .LBB3_400
.LBB3_399:                              ;   in Loop: Header=BB3_400 Depth=1
	s_or_b64 exec, exec, s[6:7]
	v_cmp_gt_u32_e32 vcc, 4, v7
	s_or_b64 s[2:3], vcc, s[2:3]
	v_mov_b32_e32 v7, v0
	buffer_wbinvl1_vol
	s_andn2_b64 exec, exec, s[2:3]
	s_cbranch_execz .LBB3_402
.LBB3_400:                              ; =>This Inner Loop Header: Depth=1
	v_lshrrev_b32_e32 v0, 1, v7
	v_cmp_lt_i32_e32 vcc, v6, v0
	flat_store_dword v[4:5], v35
	s_waitcnt vmcnt(0) lgkmcnt(0)
	buffer_wbinvl1_vol
	s_and_saveexec_b64 s[6:7], vcc
	s_cbranch_execz .LBB3_399
; %bb.401:                              ;   in Loop: Header=BB3_400 Depth=1
	v_lshlrev_b64 v[8:9], 2, v[0:1]
	v_add_co_u32_e32 v8, vcc, v4, v8
	v_addc_co_u32_e32 v9, vcc, v5, v9, vcc
	flat_load_dword v8, v[8:9]
	s_waitcnt vmcnt(0) lgkmcnt(0)
	v_add_u32_e32 v35, v8, v35
	s_branch .LBB3_399
.LBB3_402:
	s_or_b64 exec, exec, s[2:3]
.LBB3_403:
	s_or_b64 exec, exec, s[0:1]
	v_cmp_eq_u32_e64 s[0:1], 0, v6
	s_and_b64 exec, exec, s[0:1]
	s_cbranch_execz .LBB3_647
; %bb.404:
	s_load_dwordx2 s[6:7], s[8:9], 0x50
	v_mbcnt_lo_u32_b32 v0, -1, 0
	v_mbcnt_hi_u32_b32 v34, -1, v0
	v_readfirstlane_b32 s2, v34
	v_mov_b32_e32 v0, 0
	v_mov_b32_e32 v1, 0
	v_cmp_eq_u32_e64 s[2:3], s2, v34
	s_and_saveexec_b64 s[8:9], s[2:3]
	s_cbranch_execz .LBB3_410
; %bb.405:
	v_mov_b32_e32 v4, 0
	s_waitcnt lgkmcnt(0)
	global_load_dwordx2 v[7:8], v4, s[6:7] offset:24 glc
	s_waitcnt vmcnt(0)
	buffer_wbinvl1_vol
	global_load_dwordx2 v[0:1], v4, s[6:7] offset:40
	global_load_dwordx2 v[5:6], v4, s[6:7]
	s_waitcnt vmcnt(1)
	v_and_b32_e32 v0, v0, v7
	v_and_b32_e32 v1, v1, v8
	v_mul_lo_u32 v1, v1, 24
	v_mul_hi_u32 v9, v0, 24
	v_mul_lo_u32 v0, v0, 24
	v_add_u32_e32 v1, v9, v1
	s_waitcnt vmcnt(0)
	v_add_co_u32_e32 v0, vcc, v5, v0
	v_addc_co_u32_e32 v1, vcc, v6, v1, vcc
	global_load_dwordx2 v[5:6], v[0:1], off glc
	s_waitcnt vmcnt(0)
	global_atomic_cmpswap_x2 v[0:1], v4, v[5:8], s[6:7] offset:24 glc
	s_waitcnt vmcnt(0)
	buffer_wbinvl1_vol
	v_cmp_ne_u64_e32 vcc, v[0:1], v[7:8]
	s_and_saveexec_b64 s[12:13], vcc
	s_cbranch_execz .LBB3_409
; %bb.406:
	s_mov_b64 s[14:15], 0
.LBB3_407:                              ; =>This Inner Loop Header: Depth=1
	s_sleep 1
	global_load_dwordx2 v[5:6], v4, s[6:7] offset:40
	global_load_dwordx2 v[9:10], v4, s[6:7]
	v_mov_b32_e32 v8, v1
	v_mov_b32_e32 v7, v0
	s_waitcnt vmcnt(1)
	v_and_b32_e32 v0, v5, v7
	s_waitcnt vmcnt(0)
	v_mad_u64_u32 v[0:1], s[16:17], v0, 24, v[9:10]
	v_and_b32_e32 v5, v6, v8
	v_mad_u64_u32 v[5:6], s[16:17], v5, 24, v[1:2]
	v_mov_b32_e32 v1, v5
	global_load_dwordx2 v[5:6], v[0:1], off glc
	s_waitcnt vmcnt(0)
	global_atomic_cmpswap_x2 v[0:1], v4, v[5:8], s[6:7] offset:24 glc
	s_waitcnt vmcnt(0)
	buffer_wbinvl1_vol
	v_cmp_eq_u64_e32 vcc, v[0:1], v[7:8]
	s_or_b64 s[14:15], vcc, s[14:15]
	s_andn2_b64 exec, exec, s[14:15]
	s_cbranch_execnz .LBB3_407
; %bb.408:
	s_or_b64 exec, exec, s[14:15]
.LBB3_409:
	s_or_b64 exec, exec, s[12:13]
.LBB3_410:
	s_or_b64 exec, exec, s[8:9]
	v_mov_b32_e32 v8, 0
	s_waitcnt lgkmcnt(0)
	global_load_dwordx2 v[9:10], v8, s[6:7] offset:40
	global_load_dwordx4 v[4:7], v8, s[6:7]
	v_readfirstlane_b32 s9, v1
	v_readfirstlane_b32 s8, v0
	s_mov_b64 s[12:13], exec
	s_waitcnt vmcnt(1)
	v_readfirstlane_b32 s14, v9
	v_readfirstlane_b32 s15, v10
	s_and_b64 s[14:15], s[14:15], s[8:9]
	s_mul_i32 s16, s15, 24
	s_mul_hi_u32 s17, s14, 24
	s_mul_i32 s18, s14, 24
	s_add_i32 s16, s17, s16
	v_mov_b32_e32 v1, s16
	s_waitcnt vmcnt(0)
	v_add_co_u32_e32 v0, vcc, s18, v4
	v_addc_co_u32_e32 v1, vcc, v5, v1, vcc
	s_and_saveexec_b64 s[16:17], s[2:3]
	s_cbranch_execz .LBB3_412
; %bb.411:
	v_mov_b32_e32 v9, s12
	v_mov_b32_e32 v10, s13
	v_mov_b32_e32 v11, 2
	v_mov_b32_e32 v12, 1
	global_store_dwordx4 v[0:1], v[9:12], off offset:8
.LBB3_412:
	s_or_b64 exec, exec, s[16:17]
	s_lshl_b64 s[12:13], s[14:15], 12
	v_mov_b32_e32 v9, s13
	v_add_co_u32_e32 v6, vcc, s12, v6
	v_addc_co_u32_e32 v13, vcc, v7, v9, vcc
	v_lshlrev_b32_e32 v33, 6, v34
	s_mov_b32 s12, 0
	v_mov_b32_e32 v7, 33
	v_mov_b32_e32 v9, v8
	;; [unrolled: 1-line block ×3, first 2 shown]
	v_readfirstlane_b32 s16, v6
	v_readfirstlane_b32 s17, v13
	v_add_co_u32_e32 v11, vcc, v6, v33
	s_mov_b32 s13, s12
	s_mov_b32 s14, s12
	;; [unrolled: 1-line block ×3, first 2 shown]
	s_nop 0
	global_store_dwordx4 v33, v[7:10], s[16:17]
	v_mov_b32_e32 v6, s12
	v_addc_co_u32_e32 v12, vcc, 0, v13, vcc
	v_mov_b32_e32 v7, s13
	v_mov_b32_e32 v8, s14
	;; [unrolled: 1-line block ×3, first 2 shown]
	global_store_dwordx4 v33, v[6:9], s[16:17] offset:16
	global_store_dwordx4 v33, v[6:9], s[16:17] offset:32
	;; [unrolled: 1-line block ×3, first 2 shown]
	s_and_saveexec_b64 s[12:13], s[2:3]
	s_cbranch_execz .LBB3_420
; %bb.413:
	v_mov_b32_e32 v10, 0
	global_load_dwordx2 v[15:16], v10, s[6:7] offset:32 glc
	global_load_dwordx2 v[6:7], v10, s[6:7] offset:40
	v_mov_b32_e32 v13, s8
	v_mov_b32_e32 v14, s9
	s_waitcnt vmcnt(0)
	v_and_b32_e32 v6, s8, v6
	v_and_b32_e32 v7, s9, v7
	v_mul_lo_u32 v7, v7, 24
	v_mul_hi_u32 v8, v6, 24
	v_mul_lo_u32 v6, v6, 24
	v_add_u32_e32 v7, v8, v7
	v_add_co_u32_e32 v8, vcc, v4, v6
	v_addc_co_u32_e32 v9, vcc, v5, v7, vcc
	global_store_dwordx2 v[8:9], v[15:16], off
	s_waitcnt vmcnt(0)
	global_atomic_cmpswap_x2 v[6:7], v10, v[13:16], s[6:7] offset:32 glc
	s_waitcnt vmcnt(0)
	v_cmp_ne_u64_e32 vcc, v[6:7], v[15:16]
	s_and_saveexec_b64 s[14:15], vcc
	s_cbranch_execz .LBB3_416
; %bb.414:
	s_mov_b64 s[16:17], 0
.LBB3_415:                              ; =>This Inner Loop Header: Depth=1
	s_sleep 1
	global_store_dwordx2 v[8:9], v[6:7], off
	v_mov_b32_e32 v4, s8
	v_mov_b32_e32 v5, s9
	s_waitcnt vmcnt(0)
	global_atomic_cmpswap_x2 v[4:5], v10, v[4:7], s[6:7] offset:32 glc
	s_waitcnt vmcnt(0)
	v_cmp_eq_u64_e32 vcc, v[4:5], v[6:7]
	v_mov_b32_e32 v7, v5
	s_or_b64 s[16:17], vcc, s[16:17]
	v_mov_b32_e32 v6, v4
	s_andn2_b64 exec, exec, s[16:17]
	s_cbranch_execnz .LBB3_415
.LBB3_416:
	s_or_b64 exec, exec, s[14:15]
	v_mov_b32_e32 v7, 0
	global_load_dwordx2 v[4:5], v7, s[6:7] offset:16
	s_mov_b64 s[14:15], exec
	v_mbcnt_lo_u32_b32 v6, s14, 0
	v_mbcnt_hi_u32_b32 v6, s15, v6
	v_cmp_eq_u32_e32 vcc, 0, v6
	s_and_saveexec_b64 s[16:17], vcc
	s_cbranch_execz .LBB3_418
; %bb.417:
	s_bcnt1_i32_b64 s14, s[14:15]
	v_mov_b32_e32 v6, s14
	s_waitcnt vmcnt(0)
	global_atomic_add_x2 v[4:5], v[6:7], off offset:8
.LBB3_418:
	s_or_b64 exec, exec, s[16:17]
	s_waitcnt vmcnt(0)
	global_load_dwordx2 v[6:7], v[4:5], off offset:16
	s_waitcnt vmcnt(0)
	v_cmp_eq_u64_e32 vcc, 0, v[6:7]
	s_cbranch_vccnz .LBB3_420
; %bb.419:
	global_load_dword v4, v[4:5], off offset:24
	v_mov_b32_e32 v5, 0
	s_waitcnt vmcnt(0)
	v_readfirstlane_b32 s14, v4
	s_and_b32 m0, s14, 0xffffff
	global_store_dwordx2 v[6:7], v[4:5], off
	s_sendmsg sendmsg(MSG_INTERRUPT)
.LBB3_420:
	s_or_b64 exec, exec, s[12:13]
	s_branch .LBB3_424
.LBB3_421:                              ;   in Loop: Header=BB3_424 Depth=1
	s_or_b64 exec, exec, s[12:13]
	v_readfirstlane_b32 s12, v4
	s_cmp_eq_u32 s12, 0
	s_cbranch_scc1 .LBB3_423
; %bb.422:                              ;   in Loop: Header=BB3_424 Depth=1
	s_sleep 1
	s_cbranch_execnz .LBB3_424
	s_branch .LBB3_426
.LBB3_423:
	s_branch .LBB3_426
.LBB3_424:                              ; =>This Inner Loop Header: Depth=1
	v_mov_b32_e32 v4, 1
	s_and_saveexec_b64 s[12:13], s[2:3]
	s_cbranch_execz .LBB3_421
; %bb.425:                              ;   in Loop: Header=BB3_424 Depth=1
	global_load_dword v4, v[0:1], off offset:20 glc
	s_waitcnt vmcnt(0)
	buffer_wbinvl1_vol
	v_and_b32_e32 v4, 1, v4
	s_branch .LBB3_421
.LBB3_426:
	global_load_dwordx2 v[4:5], v[11:12], off
	s_and_saveexec_b64 s[12:13], s[2:3]
	s_cbranch_execz .LBB3_429
; %bb.427:
	v_mov_b32_e32 v10, 0
	global_load_dwordx2 v[0:1], v10, s[6:7] offset:40
	global_load_dwordx2 v[13:14], v10, s[6:7] offset:24 glc
	global_load_dwordx2 v[6:7], v10, s[6:7]
	s_waitcnt vmcnt(2)
	v_readfirstlane_b32 s14, v0
	v_readfirstlane_b32 s15, v1
	s_add_u32 s16, s14, 1
	s_addc_u32 s17, s15, 0
	s_add_u32 s2, s16, s8
	s_addc_u32 s3, s17, s9
	s_cmp_eq_u64 s[2:3], 0
	s_cselect_b32 s3, s17, s3
	s_cselect_b32 s2, s16, s2
	s_and_b64 s[8:9], s[2:3], s[14:15]
	s_mul_i32 s9, s9, 24
	s_mul_hi_u32 s14, s8, 24
	s_mul_i32 s8, s8, 24
	s_add_i32 s9, s14, s9
	v_mov_b32_e32 v1, s9
	s_waitcnt vmcnt(0)
	v_add_co_u32_e32 v0, vcc, s8, v6
	v_addc_co_u32_e32 v1, vcc, v7, v1, vcc
	v_mov_b32_e32 v11, s2
	global_store_dwordx2 v[0:1], v[13:14], off
	v_mov_b32_e32 v12, s3
	s_waitcnt vmcnt(0)
	global_atomic_cmpswap_x2 v[8:9], v10, v[11:14], s[6:7] offset:24 glc
	s_mov_b64 s[8:9], 0
	s_waitcnt vmcnt(0)
	v_cmp_ne_u64_e32 vcc, v[8:9], v[13:14]
	s_and_b64 exec, exec, vcc
	s_cbranch_execz .LBB3_429
.LBB3_428:                              ; =>This Inner Loop Header: Depth=1
	s_sleep 1
	global_store_dwordx2 v[0:1], v[8:9], off
	v_mov_b32_e32 v6, s2
	v_mov_b32_e32 v7, s3
	s_waitcnt vmcnt(0)
	global_atomic_cmpswap_x2 v[6:7], v10, v[6:9], s[6:7] offset:24 glc
	s_waitcnt vmcnt(0)
	v_cmp_eq_u64_e32 vcc, v[6:7], v[8:9]
	v_mov_b32_e32 v9, v7
	s_or_b64 s[8:9], vcc, s[8:9]
	v_mov_b32_e32 v8, v6
	s_andn2_b64 exec, exec, s[8:9]
	s_cbranch_execnz .LBB3_428
.LBB3_429:
	s_or_b64 exec, exec, s[12:13]
	s_getpc_b64 s[8:9]
	s_add_u32 s8, s8, .str.2@rel32@lo+4
	s_addc_u32 s9, s9, .str.2@rel32@hi+12
	s_cmp_lg_u64 s[8:9], 0
	s_cselect_b64 s[2:3], -1, 0
	s_cmp_eq_u64 s[8:9], 0
	s_mov_b64 s[8:9], 0
	s_cbranch_scc1 .LBB3_433
; %bb.430:
	v_mov_b32_e32 v0, 0
	s_getpc_b64 s[8:9]
	s_add_u32 s8, s8, .str.2@rel32@lo+3
	s_addc_u32 s9, s9, .str.2@rel32@hi+11
.LBB3_431:                              ; =>This Inner Loop Header: Depth=1
	global_load_ubyte v1, v0, s[8:9] offset:1
	s_add_u32 s12, s8, 1
	s_addc_u32 s13, s9, 0
	s_mov_b64 s[8:9], s[12:13]
	s_waitcnt vmcnt(0)
	v_cmp_ne_u32_e32 vcc, 0, v1
	s_cbranch_vccnz .LBB3_431
; %bb.432:
	s_getpc_b64 s[8:9]
	s_add_u32 s8, s8, .str.2@rel32@lo+4
	s_addc_u32 s9, s9, .str.2@rel32@hi+12
	s_sub_u32 s8, s12, s8
	s_subb_u32 s9, s13, s9
	s_add_u32 s8, s8, 1
	s_addc_u32 s9, s9, 0
.LBB3_433:
	s_and_b64 vcc, exec, s[2:3]
	s_cbranch_vccz .LBB3_519
; %bb.434:
	v_mov_b32_e32 v1, 0
	s_waitcnt vmcnt(0)
	v_and_b32_e32 v6, -3, v4
	v_mov_b32_e32 v7, v5
	v_mov_b32_e32 v12, 2
	;; [unrolled: 1-line block ×3, first 2 shown]
	s_getpc_b64 s[12:13]
	s_add_u32 s12, s12, .str.2@rel32@lo+4
	s_addc_u32 s13, s13, .str.2@rel32@hi+12
	s_branch .LBB3_436
.LBB3_435:                              ;   in Loop: Header=BB3_436 Depth=1
	s_or_b64 exec, exec, s[18:19]
	s_sub_u32 s8, s8, s14
	s_subb_u32 s9, s9, s15
	s_add_u32 s12, s12, s14
	s_addc_u32 s13, s13, s15
	s_cmp_lg_u64 s[8:9], 0
	s_cbranch_scc0 .LBB3_518
.LBB3_436:                              ; =>This Loop Header: Depth=1
                                        ;     Child Loop BB3_439 Depth 2
                                        ;     Child Loop BB3_447 Depth 2
	;; [unrolled: 1-line block ×11, first 2 shown]
	v_cmp_lt_u64_e64 s[2:3], s[8:9], 56
	v_cmp_gt_u64_e64 s[16:17], s[8:9], 7
	s_and_b64 s[2:3], s[2:3], exec
	s_cselect_b32 s15, s9, 0
	s_cselect_b32 s14, s8, 56
	s_add_u32 s2, s12, 8
	s_addc_u32 s3, s13, 0
	s_and_b64 vcc, exec, s[16:17]
	s_cbranch_vccnz .LBB3_440
; %bb.437:                              ;   in Loop: Header=BB3_436 Depth=1
	s_cmp_eq_u64 s[8:9], 0
	s_cbranch_scc1 .LBB3_441
; %bb.438:                              ;   in Loop: Header=BB3_436 Depth=1
	v_mov_b32_e32 v8, 0
	s_lshl_b64 s[2:3], s[14:15], 3
	s_mov_b64 s[16:17], 0
	v_mov_b32_e32 v9, 0
	s_mov_b64 s[18:19], s[12:13]
.LBB3_439:                              ;   Parent Loop BB3_436 Depth=1
                                        ; =>  This Inner Loop Header: Depth=2
	global_load_ubyte v0, v1, s[18:19]
	s_waitcnt vmcnt(0)
	v_and_b32_e32 v0, 0xffff, v0
	v_lshlrev_b64 v[10:11], s16, v[0:1]
	s_add_u32 s16, s16, 8
	s_addc_u32 s17, s17, 0
	s_add_u32 s18, s18, 1
	s_addc_u32 s19, s19, 0
	v_or_b32_e32 v8, v10, v8
	s_cmp_lg_u32 s2, s16
	v_or_b32_e32 v9, v11, v9
	s_cbranch_scc1 .LBB3_439
	s_branch .LBB3_442
.LBB3_440:                              ;   in Loop: Header=BB3_436 Depth=1
	s_mov_b32 s20, 0
	s_branch .LBB3_443
.LBB3_441:                              ;   in Loop: Header=BB3_436 Depth=1
	v_mov_b32_e32 v8, 0
	v_mov_b32_e32 v9, 0
.LBB3_442:                              ;   in Loop: Header=BB3_436 Depth=1
	s_mov_b64 s[2:3], s[12:13]
	s_mov_b32 s20, 0
	s_cbranch_execnz .LBB3_444
.LBB3_443:                              ;   in Loop: Header=BB3_436 Depth=1
	global_load_dwordx2 v[8:9], v1, s[12:13]
	s_add_i32 s20, s14, -8
.LBB3_444:                              ;   in Loop: Header=BB3_436 Depth=1
	s_add_u32 s16, s2, 8
	s_addc_u32 s17, s3, 0
	s_cmp_gt_u32 s20, 7
	s_cbranch_scc1 .LBB3_448
; %bb.445:                              ;   in Loop: Header=BB3_436 Depth=1
	s_cmp_eq_u32 s20, 0
	s_cbranch_scc1 .LBB3_449
; %bb.446:                              ;   in Loop: Header=BB3_436 Depth=1
	v_mov_b32_e32 v14, 0
	s_mov_b64 s[16:17], 0
	v_mov_b32_e32 v15, 0
	s_mov_b64 s[18:19], 0
.LBB3_447:                              ;   Parent Loop BB3_436 Depth=1
                                        ; =>  This Inner Loop Header: Depth=2
	s_add_u32 s22, s2, s18
	s_addc_u32 s23, s3, s19
	global_load_ubyte v0, v1, s[22:23]
	s_add_u32 s18, s18, 1
	s_addc_u32 s19, s19, 0
	s_waitcnt vmcnt(0)
	v_and_b32_e32 v0, 0xffff, v0
	v_lshlrev_b64 v[10:11], s16, v[0:1]
	s_add_u32 s16, s16, 8
	s_addc_u32 s17, s17, 0
	v_or_b32_e32 v14, v10, v14
	s_cmp_lg_u32 s20, s18
	v_or_b32_e32 v15, v11, v15
	s_cbranch_scc1 .LBB3_447
	s_branch .LBB3_450
.LBB3_448:                              ;   in Loop: Header=BB3_436 Depth=1
                                        ; implicit-def: $vgpr14_vgpr15
	s_mov_b32 s21, 0
	s_branch .LBB3_451
.LBB3_449:                              ;   in Loop: Header=BB3_436 Depth=1
	v_mov_b32_e32 v14, 0
	v_mov_b32_e32 v15, 0
.LBB3_450:                              ;   in Loop: Header=BB3_436 Depth=1
	s_mov_b64 s[16:17], s[2:3]
	s_mov_b32 s21, 0
	s_cbranch_execnz .LBB3_452
.LBB3_451:                              ;   in Loop: Header=BB3_436 Depth=1
	global_load_dwordx2 v[14:15], v1, s[2:3]
	s_add_i32 s21, s20, -8
.LBB3_452:                              ;   in Loop: Header=BB3_436 Depth=1
	s_add_u32 s2, s16, 8
	s_addc_u32 s3, s17, 0
	s_cmp_gt_u32 s21, 7
	s_cbranch_scc1 .LBB3_456
; %bb.453:                              ;   in Loop: Header=BB3_436 Depth=1
	s_cmp_eq_u32 s21, 0
	s_cbranch_scc1 .LBB3_457
; %bb.454:                              ;   in Loop: Header=BB3_436 Depth=1
	v_mov_b32_e32 v16, 0
	s_mov_b64 s[2:3], 0
	v_mov_b32_e32 v17, 0
	s_mov_b64 s[18:19], 0
.LBB3_455:                              ;   Parent Loop BB3_436 Depth=1
                                        ; =>  This Inner Loop Header: Depth=2
	s_add_u32 s22, s16, s18
	s_addc_u32 s23, s17, s19
	global_load_ubyte v0, v1, s[22:23]
	s_add_u32 s18, s18, 1
	s_addc_u32 s19, s19, 0
	s_waitcnt vmcnt(0)
	v_and_b32_e32 v0, 0xffff, v0
	v_lshlrev_b64 v[10:11], s2, v[0:1]
	s_add_u32 s2, s2, 8
	s_addc_u32 s3, s3, 0
	v_or_b32_e32 v16, v10, v16
	s_cmp_lg_u32 s21, s18
	v_or_b32_e32 v17, v11, v17
	s_cbranch_scc1 .LBB3_455
	s_branch .LBB3_458
.LBB3_456:                              ;   in Loop: Header=BB3_436 Depth=1
	s_mov_b32 s20, 0
	s_branch .LBB3_459
.LBB3_457:                              ;   in Loop: Header=BB3_436 Depth=1
	v_mov_b32_e32 v16, 0
	v_mov_b32_e32 v17, 0
.LBB3_458:                              ;   in Loop: Header=BB3_436 Depth=1
	s_mov_b64 s[2:3], s[16:17]
	s_mov_b32 s20, 0
	s_cbranch_execnz .LBB3_460
.LBB3_459:                              ;   in Loop: Header=BB3_436 Depth=1
	global_load_dwordx2 v[16:17], v1, s[16:17]
	s_add_i32 s20, s21, -8
.LBB3_460:                              ;   in Loop: Header=BB3_436 Depth=1
	s_add_u32 s16, s2, 8
	s_addc_u32 s17, s3, 0
	s_cmp_gt_u32 s20, 7
	s_cbranch_scc1 .LBB3_464
; %bb.461:                              ;   in Loop: Header=BB3_436 Depth=1
	s_cmp_eq_u32 s20, 0
	s_cbranch_scc1 .LBB3_465
; %bb.462:                              ;   in Loop: Header=BB3_436 Depth=1
	v_mov_b32_e32 v18, 0
	s_mov_b64 s[16:17], 0
	v_mov_b32_e32 v19, 0
	s_mov_b64 s[18:19], 0
.LBB3_463:                              ;   Parent Loop BB3_436 Depth=1
                                        ; =>  This Inner Loop Header: Depth=2
	s_add_u32 s22, s2, s18
	s_addc_u32 s23, s3, s19
	global_load_ubyte v0, v1, s[22:23]
	s_add_u32 s18, s18, 1
	s_addc_u32 s19, s19, 0
	s_waitcnt vmcnt(0)
	v_and_b32_e32 v0, 0xffff, v0
	v_lshlrev_b64 v[10:11], s16, v[0:1]
	s_add_u32 s16, s16, 8
	s_addc_u32 s17, s17, 0
	v_or_b32_e32 v18, v10, v18
	s_cmp_lg_u32 s20, s18
	v_or_b32_e32 v19, v11, v19
	s_cbranch_scc1 .LBB3_463
	s_branch .LBB3_466
.LBB3_464:                              ;   in Loop: Header=BB3_436 Depth=1
                                        ; implicit-def: $vgpr18_vgpr19
	s_mov_b32 s21, 0
	s_branch .LBB3_467
.LBB3_465:                              ;   in Loop: Header=BB3_436 Depth=1
	v_mov_b32_e32 v18, 0
	v_mov_b32_e32 v19, 0
.LBB3_466:                              ;   in Loop: Header=BB3_436 Depth=1
	s_mov_b64 s[16:17], s[2:3]
	s_mov_b32 s21, 0
	s_cbranch_execnz .LBB3_468
.LBB3_467:                              ;   in Loop: Header=BB3_436 Depth=1
	global_load_dwordx2 v[18:19], v1, s[2:3]
	s_add_i32 s21, s20, -8
.LBB3_468:                              ;   in Loop: Header=BB3_436 Depth=1
	s_add_u32 s2, s16, 8
	s_addc_u32 s3, s17, 0
	s_cmp_gt_u32 s21, 7
	s_cbranch_scc1 .LBB3_472
; %bb.469:                              ;   in Loop: Header=BB3_436 Depth=1
	s_cmp_eq_u32 s21, 0
	s_cbranch_scc1 .LBB3_473
; %bb.470:                              ;   in Loop: Header=BB3_436 Depth=1
	v_mov_b32_e32 v20, 0
	s_mov_b64 s[2:3], 0
	v_mov_b32_e32 v21, 0
	s_mov_b64 s[18:19], 0
.LBB3_471:                              ;   Parent Loop BB3_436 Depth=1
                                        ; =>  This Inner Loop Header: Depth=2
	s_add_u32 s22, s16, s18
	s_addc_u32 s23, s17, s19
	global_load_ubyte v0, v1, s[22:23]
	s_add_u32 s18, s18, 1
	s_addc_u32 s19, s19, 0
	s_waitcnt vmcnt(0)
	v_and_b32_e32 v0, 0xffff, v0
	v_lshlrev_b64 v[10:11], s2, v[0:1]
	s_add_u32 s2, s2, 8
	s_addc_u32 s3, s3, 0
	v_or_b32_e32 v20, v10, v20
	s_cmp_lg_u32 s21, s18
	v_or_b32_e32 v21, v11, v21
	s_cbranch_scc1 .LBB3_471
	s_branch .LBB3_474
.LBB3_472:                              ;   in Loop: Header=BB3_436 Depth=1
	s_mov_b32 s20, 0
	s_branch .LBB3_475
.LBB3_473:                              ;   in Loop: Header=BB3_436 Depth=1
	v_mov_b32_e32 v20, 0
	v_mov_b32_e32 v21, 0
.LBB3_474:                              ;   in Loop: Header=BB3_436 Depth=1
	s_mov_b64 s[2:3], s[16:17]
	s_mov_b32 s20, 0
	s_cbranch_execnz .LBB3_476
.LBB3_475:                              ;   in Loop: Header=BB3_436 Depth=1
	global_load_dwordx2 v[20:21], v1, s[16:17]
	s_add_i32 s20, s21, -8
.LBB3_476:                              ;   in Loop: Header=BB3_436 Depth=1
	s_add_u32 s16, s2, 8
	s_addc_u32 s17, s3, 0
	s_cmp_gt_u32 s20, 7
	s_cbranch_scc1 .LBB3_480
; %bb.477:                              ;   in Loop: Header=BB3_436 Depth=1
	s_cmp_eq_u32 s20, 0
	s_cbranch_scc1 .LBB3_481
; %bb.478:                              ;   in Loop: Header=BB3_436 Depth=1
	v_mov_b32_e32 v22, 0
	s_mov_b64 s[16:17], 0
	v_mov_b32_e32 v23, 0
	s_mov_b64 s[18:19], 0
.LBB3_479:                              ;   Parent Loop BB3_436 Depth=1
                                        ; =>  This Inner Loop Header: Depth=2
	s_add_u32 s22, s2, s18
	s_addc_u32 s23, s3, s19
	global_load_ubyte v0, v1, s[22:23]
	s_add_u32 s18, s18, 1
	s_addc_u32 s19, s19, 0
	s_waitcnt vmcnt(0)
	v_and_b32_e32 v0, 0xffff, v0
	v_lshlrev_b64 v[10:11], s16, v[0:1]
	s_add_u32 s16, s16, 8
	s_addc_u32 s17, s17, 0
	v_or_b32_e32 v22, v10, v22
	s_cmp_lg_u32 s20, s18
	v_or_b32_e32 v23, v11, v23
	s_cbranch_scc1 .LBB3_479
	s_branch .LBB3_482
.LBB3_480:                              ;   in Loop: Header=BB3_436 Depth=1
                                        ; implicit-def: $vgpr22_vgpr23
	s_mov_b32 s21, 0
	s_branch .LBB3_483
.LBB3_481:                              ;   in Loop: Header=BB3_436 Depth=1
	v_mov_b32_e32 v22, 0
	v_mov_b32_e32 v23, 0
.LBB3_482:                              ;   in Loop: Header=BB3_436 Depth=1
	s_mov_b64 s[16:17], s[2:3]
	s_mov_b32 s21, 0
	s_cbranch_execnz .LBB3_484
.LBB3_483:                              ;   in Loop: Header=BB3_436 Depth=1
	global_load_dwordx2 v[22:23], v1, s[2:3]
	s_add_i32 s21, s20, -8
.LBB3_484:                              ;   in Loop: Header=BB3_436 Depth=1
	s_cmp_gt_u32 s21, 7
	s_cbranch_scc1 .LBB3_488
; %bb.485:                              ;   in Loop: Header=BB3_436 Depth=1
	s_cmp_eq_u32 s21, 0
	s_cbranch_scc1 .LBB3_489
; %bb.486:                              ;   in Loop: Header=BB3_436 Depth=1
	v_mov_b32_e32 v24, 0
	s_mov_b64 s[2:3], 0
	v_mov_b32_e32 v25, 0
	s_mov_b64 s[18:19], s[16:17]
.LBB3_487:                              ;   Parent Loop BB3_436 Depth=1
                                        ; =>  This Inner Loop Header: Depth=2
	global_load_ubyte v0, v1, s[18:19]
	s_add_i32 s21, s21, -1
	s_waitcnt vmcnt(0)
	v_and_b32_e32 v0, 0xffff, v0
	v_lshlrev_b64 v[10:11], s2, v[0:1]
	s_add_u32 s2, s2, 8
	s_addc_u32 s3, s3, 0
	s_add_u32 s18, s18, 1
	s_addc_u32 s19, s19, 0
	v_or_b32_e32 v24, v10, v24
	s_cmp_lg_u32 s21, 0
	v_or_b32_e32 v25, v11, v25
	s_cbranch_scc1 .LBB3_487
	s_branch .LBB3_490
.LBB3_488:                              ;   in Loop: Header=BB3_436 Depth=1
	s_branch .LBB3_491
.LBB3_489:                              ;   in Loop: Header=BB3_436 Depth=1
	v_mov_b32_e32 v24, 0
	v_mov_b32_e32 v25, 0
.LBB3_490:                              ;   in Loop: Header=BB3_436 Depth=1
	s_cbranch_execnz .LBB3_492
.LBB3_491:                              ;   in Loop: Header=BB3_436 Depth=1
	global_load_dwordx2 v[24:25], v1, s[16:17]
.LBB3_492:                              ;   in Loop: Header=BB3_436 Depth=1
	v_readfirstlane_b32 s2, v34
	v_mov_b32_e32 v10, 0
	v_mov_b32_e32 v11, 0
	v_cmp_eq_u32_e64 s[2:3], s2, v34
	s_and_saveexec_b64 s[16:17], s[2:3]
	s_cbranch_execz .LBB3_498
; %bb.493:                              ;   in Loop: Header=BB3_436 Depth=1
	global_load_dwordx2 v[28:29], v1, s[6:7] offset:24 glc
	s_waitcnt vmcnt(0)
	buffer_wbinvl1_vol
	global_load_dwordx2 v[10:11], v1, s[6:7] offset:40
	global_load_dwordx2 v[26:27], v1, s[6:7]
	s_waitcnt vmcnt(1)
	v_and_b32_e32 v0, v10, v28
	v_and_b32_e32 v10, v11, v29
	v_mul_lo_u32 v10, v10, 24
	v_mul_hi_u32 v11, v0, 24
	v_mul_lo_u32 v0, v0, 24
	v_add_u32_e32 v11, v11, v10
	s_waitcnt vmcnt(0)
	v_add_co_u32_e32 v10, vcc, v26, v0
	v_addc_co_u32_e32 v11, vcc, v27, v11, vcc
	global_load_dwordx2 v[26:27], v[10:11], off glc
	s_waitcnt vmcnt(0)
	global_atomic_cmpswap_x2 v[10:11], v1, v[26:29], s[6:7] offset:24 glc
	s_waitcnt vmcnt(0)
	buffer_wbinvl1_vol
	v_cmp_ne_u64_e32 vcc, v[10:11], v[28:29]
	s_and_saveexec_b64 s[18:19], vcc
	s_cbranch_execz .LBB3_497
; %bb.494:                              ;   in Loop: Header=BB3_436 Depth=1
	s_mov_b64 s[20:21], 0
.LBB3_495:                              ;   Parent Loop BB3_436 Depth=1
                                        ; =>  This Inner Loop Header: Depth=2
	s_sleep 1
	global_load_dwordx2 v[26:27], v1, s[6:7] offset:40
	global_load_dwordx2 v[30:31], v1, s[6:7]
	v_mov_b32_e32 v29, v11
	v_mov_b32_e32 v28, v10
	s_waitcnt vmcnt(1)
	v_and_b32_e32 v0, v26, v28
	s_waitcnt vmcnt(0)
	v_mad_u64_u32 v[10:11], s[22:23], v0, 24, v[30:31]
	v_and_b32_e32 v26, v27, v29
	v_mov_b32_e32 v0, v11
	v_mad_u64_u32 v[26:27], s[22:23], v26, 24, v[0:1]
	v_mov_b32_e32 v11, v26
	global_load_dwordx2 v[26:27], v[10:11], off glc
	s_waitcnt vmcnt(0)
	global_atomic_cmpswap_x2 v[10:11], v1, v[26:29], s[6:7] offset:24 glc
	s_waitcnt vmcnt(0)
	buffer_wbinvl1_vol
	v_cmp_eq_u64_e32 vcc, v[10:11], v[28:29]
	s_or_b64 s[20:21], vcc, s[20:21]
	s_andn2_b64 exec, exec, s[20:21]
	s_cbranch_execnz .LBB3_495
; %bb.496:                              ;   in Loop: Header=BB3_436 Depth=1
	s_or_b64 exec, exec, s[20:21]
.LBB3_497:                              ;   in Loop: Header=BB3_436 Depth=1
	s_or_b64 exec, exec, s[18:19]
.LBB3_498:                              ;   in Loop: Header=BB3_436 Depth=1
	s_or_b64 exec, exec, s[16:17]
	global_load_dwordx2 v[30:31], v1, s[6:7] offset:40
	global_load_dwordx4 v[26:29], v1, s[6:7]
	v_readfirstlane_b32 s17, v11
	v_readfirstlane_b32 s16, v10
	s_mov_b64 s[18:19], exec
	s_waitcnt vmcnt(1)
	v_readfirstlane_b32 s20, v30
	v_readfirstlane_b32 s21, v31
	s_and_b64 s[20:21], s[20:21], s[16:17]
	s_mul_i32 s22, s21, 24
	s_mul_hi_u32 s23, s20, 24
	s_mul_i32 s24, s20, 24
	s_add_i32 s22, s23, s22
	v_mov_b32_e32 v0, s22
	s_waitcnt vmcnt(0)
	v_add_co_u32_e32 v30, vcc, s24, v26
	v_addc_co_u32_e32 v31, vcc, v27, v0, vcc
	s_and_saveexec_b64 s[22:23], s[2:3]
	s_cbranch_execz .LBB3_500
; %bb.499:                              ;   in Loop: Header=BB3_436 Depth=1
	v_mov_b32_e32 v10, s18
	v_mov_b32_e32 v11, s19
	global_store_dwordx4 v[30:31], v[10:13], off offset:8
.LBB3_500:                              ;   in Loop: Header=BB3_436 Depth=1
	s_or_b64 exec, exec, s[22:23]
	s_lshl_b64 s[18:19], s[20:21], 12
	v_mov_b32_e32 v0, s19
	v_add_co_u32_e32 v28, vcc, s18, v28
	v_addc_co_u32_e32 v29, vcc, v29, v0, vcc
	v_cmp_lt_u64_e64 vcc, s[8:9], 57
	v_and_b32_e32 v0, 2, v4
	s_lshl_b32 s18, s14, 2
	v_cndmask_b32_e32 v0, 0, v0, vcc
	s_add_i32 s18, s18, 28
	v_and_b32_e32 v6, 0xffffff1f, v6
	s_and_b32 s18, s18, 0x1e0
	v_or_b32_e32 v0, v6, v0
	v_or_b32_e32 v6, s18, v0
	v_readfirstlane_b32 s18, v28
	v_readfirstlane_b32 s19, v29
	s_nop 4
	global_store_dwordx4 v33, v[6:9], s[18:19]
	global_store_dwordx4 v33, v[14:17], s[18:19] offset:16
	global_store_dwordx4 v33, v[18:21], s[18:19] offset:32
	;; [unrolled: 1-line block ×3, first 2 shown]
	s_and_saveexec_b64 s[18:19], s[2:3]
	s_cbranch_execz .LBB3_508
; %bb.501:                              ;   in Loop: Header=BB3_436 Depth=1
	global_load_dwordx2 v[16:17], v1, s[6:7] offset:32 glc
	global_load_dwordx2 v[6:7], v1, s[6:7] offset:40
	v_mov_b32_e32 v14, s16
	v_mov_b32_e32 v15, s17
	s_waitcnt vmcnt(0)
	v_readfirstlane_b32 s20, v6
	v_readfirstlane_b32 s21, v7
	s_and_b64 s[20:21], s[20:21], s[16:17]
	s_mul_i32 s21, s21, 24
	s_mul_hi_u32 s22, s20, 24
	s_mul_i32 s20, s20, 24
	s_add_i32 s21, s22, s21
	v_mov_b32_e32 v0, s21
	v_add_co_u32_e32 v10, vcc, s20, v26
	v_addc_co_u32_e32 v11, vcc, v27, v0, vcc
	global_store_dwordx2 v[10:11], v[16:17], off
	s_waitcnt vmcnt(0)
	global_atomic_cmpswap_x2 v[8:9], v1, v[14:17], s[6:7] offset:32 glc
	s_waitcnt vmcnt(0)
	v_cmp_ne_u64_e32 vcc, v[8:9], v[16:17]
	s_and_saveexec_b64 s[20:21], vcc
	s_cbranch_execz .LBB3_504
; %bb.502:                              ;   in Loop: Header=BB3_436 Depth=1
	s_mov_b64 s[22:23], 0
.LBB3_503:                              ;   Parent Loop BB3_436 Depth=1
                                        ; =>  This Inner Loop Header: Depth=2
	s_sleep 1
	global_store_dwordx2 v[10:11], v[8:9], off
	v_mov_b32_e32 v6, s16
	v_mov_b32_e32 v7, s17
	s_waitcnt vmcnt(0)
	global_atomic_cmpswap_x2 v[6:7], v1, v[6:9], s[6:7] offset:32 glc
	s_waitcnt vmcnt(0)
	v_cmp_eq_u64_e32 vcc, v[6:7], v[8:9]
	v_mov_b32_e32 v9, v7
	s_or_b64 s[22:23], vcc, s[22:23]
	v_mov_b32_e32 v8, v6
	s_andn2_b64 exec, exec, s[22:23]
	s_cbranch_execnz .LBB3_503
.LBB3_504:                              ;   in Loop: Header=BB3_436 Depth=1
	s_or_b64 exec, exec, s[20:21]
	global_load_dwordx2 v[6:7], v1, s[6:7] offset:16
	s_mov_b64 s[22:23], exec
	v_mbcnt_lo_u32_b32 v0, s22, 0
	v_mbcnt_hi_u32_b32 v0, s23, v0
	v_cmp_eq_u32_e32 vcc, 0, v0
	s_and_saveexec_b64 s[20:21], vcc
	s_cbranch_execz .LBB3_506
; %bb.505:                              ;   in Loop: Header=BB3_436 Depth=1
	s_bcnt1_i32_b64 s22, s[22:23]
	v_mov_b32_e32 v0, s22
	s_waitcnt vmcnt(0)
	global_atomic_add_x2 v[6:7], v[0:1], off offset:8
.LBB3_506:                              ;   in Loop: Header=BB3_436 Depth=1
	s_or_b64 exec, exec, s[20:21]
	s_waitcnt vmcnt(0)
	global_load_dwordx2 v[8:9], v[6:7], off offset:16
	s_waitcnt vmcnt(0)
	v_cmp_eq_u64_e32 vcc, 0, v[8:9]
	s_cbranch_vccnz .LBB3_508
; %bb.507:                              ;   in Loop: Header=BB3_436 Depth=1
	global_load_dword v0, v[6:7], off offset:24
	s_waitcnt vmcnt(0)
	v_readfirstlane_b32 s20, v0
	s_and_b32 m0, s20, 0xffffff
	global_store_dwordx2 v[8:9], v[0:1], off
	s_sendmsg sendmsg(MSG_INTERRUPT)
.LBB3_508:                              ;   in Loop: Header=BB3_436 Depth=1
	s_or_b64 exec, exec, s[18:19]
	v_add_co_u32_e32 v6, vcc, v28, v33
	v_addc_co_u32_e32 v7, vcc, 0, v29, vcc
	s_branch .LBB3_512
.LBB3_509:                              ;   in Loop: Header=BB3_512 Depth=2
	s_or_b64 exec, exec, s[18:19]
	v_readfirstlane_b32 s18, v0
	s_cmp_eq_u32 s18, 0
	s_cbranch_scc1 .LBB3_511
; %bb.510:                              ;   in Loop: Header=BB3_512 Depth=2
	s_sleep 1
	s_cbranch_execnz .LBB3_512
	s_branch .LBB3_514
.LBB3_511:                              ;   in Loop: Header=BB3_436 Depth=1
	s_branch .LBB3_514
.LBB3_512:                              ;   Parent Loop BB3_436 Depth=1
                                        ; =>  This Inner Loop Header: Depth=2
	v_mov_b32_e32 v0, 1
	s_and_saveexec_b64 s[18:19], s[2:3]
	s_cbranch_execz .LBB3_509
; %bb.513:                              ;   in Loop: Header=BB3_512 Depth=2
	global_load_dword v0, v[30:31], off offset:20 glc
	s_waitcnt vmcnt(0)
	buffer_wbinvl1_vol
	v_and_b32_e32 v0, 1, v0
	s_branch .LBB3_509
.LBB3_514:                              ;   in Loop: Header=BB3_436 Depth=1
	global_load_dwordx2 v[6:7], v[6:7], off
	s_and_saveexec_b64 s[18:19], s[2:3]
	s_cbranch_execz .LBB3_435
; %bb.515:                              ;   in Loop: Header=BB3_436 Depth=1
	global_load_dwordx2 v[8:9], v1, s[6:7] offset:40
	global_load_dwordx2 v[18:19], v1, s[6:7] offset:24 glc
	global_load_dwordx2 v[10:11], v1, s[6:7]
	s_waitcnt vmcnt(2)
	v_readfirstlane_b32 s20, v8
	v_readfirstlane_b32 s21, v9
	s_add_u32 s22, s20, 1
	s_addc_u32 s23, s21, 0
	s_add_u32 s2, s22, s16
	s_addc_u32 s3, s23, s17
	s_cmp_eq_u64 s[2:3], 0
	s_cselect_b32 s3, s23, s3
	s_cselect_b32 s2, s22, s2
	s_and_b64 s[16:17], s[2:3], s[20:21]
	s_mul_i32 s17, s17, 24
	s_mul_hi_u32 s20, s16, 24
	s_mul_i32 s16, s16, 24
	s_add_i32 s17, s20, s17
	v_mov_b32_e32 v0, s17
	s_waitcnt vmcnt(0)
	v_add_co_u32_e32 v14, vcc, s16, v10
	v_addc_co_u32_e32 v15, vcc, v11, v0, vcc
	v_mov_b32_e32 v16, s2
	global_store_dwordx2 v[14:15], v[18:19], off
	v_mov_b32_e32 v17, s3
	s_waitcnt vmcnt(0)
	global_atomic_cmpswap_x2 v[10:11], v1, v[16:19], s[6:7] offset:24 glc
	s_waitcnt vmcnt(0)
	v_cmp_ne_u64_e32 vcc, v[10:11], v[18:19]
	s_and_b64 exec, exec, vcc
	s_cbranch_execz .LBB3_435
; %bb.516:                              ;   in Loop: Header=BB3_436 Depth=1
	s_mov_b64 s[16:17], 0
.LBB3_517:                              ;   Parent Loop BB3_436 Depth=1
                                        ; =>  This Inner Loop Header: Depth=2
	s_sleep 1
	global_store_dwordx2 v[14:15], v[10:11], off
	v_mov_b32_e32 v8, s2
	v_mov_b32_e32 v9, s3
	s_waitcnt vmcnt(0)
	global_atomic_cmpswap_x2 v[8:9], v1, v[8:11], s[6:7] offset:24 glc
	s_waitcnt vmcnt(0)
	v_cmp_eq_u64_e32 vcc, v[8:9], v[10:11]
	v_mov_b32_e32 v11, v9
	s_or_b64 s[16:17], vcc, s[16:17]
	v_mov_b32_e32 v10, v8
	s_andn2_b64 exec, exec, s[16:17]
	s_cbranch_execnz .LBB3_517
	s_branch .LBB3_435
.LBB3_518:
	s_branch .LBB3_546
.LBB3_519:
                                        ; implicit-def: $vgpr6_vgpr7
	s_cbranch_execz .LBB3_546
; %bb.520:
	v_readfirstlane_b32 s2, v34
	v_mov_b32_e32 v0, 0
	v_mov_b32_e32 v1, 0
	v_cmp_eq_u32_e64 s[2:3], s2, v34
	s_and_saveexec_b64 s[8:9], s[2:3]
	s_cbranch_execz .LBB3_526
; %bb.521:
	s_waitcnt vmcnt(0)
	v_mov_b32_e32 v6, 0
	global_load_dwordx2 v[9:10], v6, s[6:7] offset:24 glc
	s_waitcnt vmcnt(0)
	buffer_wbinvl1_vol
	global_load_dwordx2 v[0:1], v6, s[6:7] offset:40
	global_load_dwordx2 v[7:8], v6, s[6:7]
	s_waitcnt vmcnt(1)
	v_and_b32_e32 v0, v0, v9
	v_and_b32_e32 v1, v1, v10
	v_mul_lo_u32 v1, v1, 24
	v_mul_hi_u32 v11, v0, 24
	v_mul_lo_u32 v0, v0, 24
	v_add_u32_e32 v1, v11, v1
	s_waitcnt vmcnt(0)
	v_add_co_u32_e32 v0, vcc, v7, v0
	v_addc_co_u32_e32 v1, vcc, v8, v1, vcc
	global_load_dwordx2 v[7:8], v[0:1], off glc
	s_waitcnt vmcnt(0)
	global_atomic_cmpswap_x2 v[0:1], v6, v[7:10], s[6:7] offset:24 glc
	s_waitcnt vmcnt(0)
	buffer_wbinvl1_vol
	v_cmp_ne_u64_e32 vcc, v[0:1], v[9:10]
	s_and_saveexec_b64 s[12:13], vcc
	s_cbranch_execz .LBB3_525
; %bb.522:
	s_mov_b64 s[14:15], 0
.LBB3_523:                              ; =>This Inner Loop Header: Depth=1
	s_sleep 1
	global_load_dwordx2 v[7:8], v6, s[6:7] offset:40
	global_load_dwordx2 v[11:12], v6, s[6:7]
	v_mov_b32_e32 v10, v1
	v_mov_b32_e32 v9, v0
	s_waitcnt vmcnt(1)
	v_and_b32_e32 v0, v7, v9
	s_waitcnt vmcnt(0)
	v_mad_u64_u32 v[0:1], s[16:17], v0, 24, v[11:12]
	v_and_b32_e32 v7, v8, v10
	v_mad_u64_u32 v[7:8], s[16:17], v7, 24, v[1:2]
	v_mov_b32_e32 v1, v7
	global_load_dwordx2 v[7:8], v[0:1], off glc
	s_waitcnt vmcnt(0)
	global_atomic_cmpswap_x2 v[0:1], v6, v[7:10], s[6:7] offset:24 glc
	s_waitcnt vmcnt(0)
	buffer_wbinvl1_vol
	v_cmp_eq_u64_e32 vcc, v[0:1], v[9:10]
	s_or_b64 s[14:15], vcc, s[14:15]
	s_andn2_b64 exec, exec, s[14:15]
	s_cbranch_execnz .LBB3_523
; %bb.524:
	s_or_b64 exec, exec, s[14:15]
.LBB3_525:
	s_or_b64 exec, exec, s[12:13]
.LBB3_526:
	s_or_b64 exec, exec, s[8:9]
	s_waitcnt vmcnt(0)
	v_mov_b32_e32 v6, 0
	global_load_dwordx2 v[12:13], v6, s[6:7] offset:40
	global_load_dwordx4 v[8:11], v6, s[6:7]
	v_readfirstlane_b32 s9, v1
	v_readfirstlane_b32 s8, v0
	s_mov_b64 s[12:13], exec
	s_waitcnt vmcnt(1)
	v_readfirstlane_b32 s14, v12
	v_readfirstlane_b32 s15, v13
	s_and_b64 s[14:15], s[14:15], s[8:9]
	s_mul_i32 s16, s15, 24
	s_mul_hi_u32 s17, s14, 24
	s_mul_i32 s18, s14, 24
	s_add_i32 s16, s17, s16
	v_mov_b32_e32 v1, s16
	s_waitcnt vmcnt(0)
	v_add_co_u32_e32 v0, vcc, s18, v8
	v_addc_co_u32_e32 v1, vcc, v9, v1, vcc
	s_and_saveexec_b64 s[16:17], s[2:3]
	s_cbranch_execz .LBB3_528
; %bb.527:
	v_mov_b32_e32 v12, s12
	v_mov_b32_e32 v13, s13
	;; [unrolled: 1-line block ×4, first 2 shown]
	global_store_dwordx4 v[0:1], v[12:15], off offset:8
.LBB3_528:
	s_or_b64 exec, exec, s[16:17]
	s_lshl_b64 s[12:13], s[14:15], 12
	v_mov_b32_e32 v7, s13
	v_add_co_u32_e32 v12, vcc, s12, v10
	v_addc_co_u32_e32 v13, vcc, v11, v7, vcc
	s_movk_i32 s12, 0xff1f
	v_and_or_b32 v4, v4, s12, 32
	s_mov_b32 s12, 0
	v_mov_b32_e32 v7, v6
	v_readfirstlane_b32 s16, v12
	v_readfirstlane_b32 s17, v13
	v_add_co_u32_e32 v10, vcc, v12, v33
	s_mov_b32 s13, s12
	s_mov_b32 s14, s12
	;; [unrolled: 1-line block ×3, first 2 shown]
	s_nop 0
	global_store_dwordx4 v33, v[4:7], s[16:17]
	v_addc_co_u32_e32 v11, vcc, 0, v13, vcc
	v_mov_b32_e32 v4, s12
	v_mov_b32_e32 v5, s13
	;; [unrolled: 1-line block ×4, first 2 shown]
	global_store_dwordx4 v33, v[4:7], s[16:17] offset:16
	global_store_dwordx4 v33, v[4:7], s[16:17] offset:32
	;; [unrolled: 1-line block ×3, first 2 shown]
	s_and_saveexec_b64 s[12:13], s[2:3]
	s_cbranch_execz .LBB3_536
; %bb.529:
	v_mov_b32_e32 v12, 0
	global_load_dwordx2 v[15:16], v12, s[6:7] offset:32 glc
	global_load_dwordx2 v[4:5], v12, s[6:7] offset:40
	v_mov_b32_e32 v13, s8
	v_mov_b32_e32 v14, s9
	s_waitcnt vmcnt(0)
	v_readfirstlane_b32 s14, v4
	v_readfirstlane_b32 s15, v5
	s_and_b64 s[14:15], s[14:15], s[8:9]
	s_mul_i32 s15, s15, 24
	s_mul_hi_u32 s16, s14, 24
	s_mul_i32 s14, s14, 24
	s_add_i32 s15, s16, s15
	v_mov_b32_e32 v4, s15
	v_add_co_u32_e32 v8, vcc, s14, v8
	v_addc_co_u32_e32 v9, vcc, v9, v4, vcc
	global_store_dwordx2 v[8:9], v[15:16], off
	s_waitcnt vmcnt(0)
	global_atomic_cmpswap_x2 v[6:7], v12, v[13:16], s[6:7] offset:32 glc
	s_waitcnt vmcnt(0)
	v_cmp_ne_u64_e32 vcc, v[6:7], v[15:16]
	s_and_saveexec_b64 s[14:15], vcc
	s_cbranch_execz .LBB3_532
; %bb.530:
	s_mov_b64 s[16:17], 0
.LBB3_531:                              ; =>This Inner Loop Header: Depth=1
	s_sleep 1
	global_store_dwordx2 v[8:9], v[6:7], off
	v_mov_b32_e32 v4, s8
	v_mov_b32_e32 v5, s9
	s_waitcnt vmcnt(0)
	global_atomic_cmpswap_x2 v[4:5], v12, v[4:7], s[6:7] offset:32 glc
	s_waitcnt vmcnt(0)
	v_cmp_eq_u64_e32 vcc, v[4:5], v[6:7]
	v_mov_b32_e32 v7, v5
	s_or_b64 s[16:17], vcc, s[16:17]
	v_mov_b32_e32 v6, v4
	s_andn2_b64 exec, exec, s[16:17]
	s_cbranch_execnz .LBB3_531
.LBB3_532:
	s_or_b64 exec, exec, s[14:15]
	v_mov_b32_e32 v7, 0
	global_load_dwordx2 v[4:5], v7, s[6:7] offset:16
	s_mov_b64 s[14:15], exec
	v_mbcnt_lo_u32_b32 v6, s14, 0
	v_mbcnt_hi_u32_b32 v6, s15, v6
	v_cmp_eq_u32_e32 vcc, 0, v6
	s_and_saveexec_b64 s[16:17], vcc
	s_cbranch_execz .LBB3_534
; %bb.533:
	s_bcnt1_i32_b64 s14, s[14:15]
	v_mov_b32_e32 v6, s14
	s_waitcnt vmcnt(0)
	global_atomic_add_x2 v[4:5], v[6:7], off offset:8
.LBB3_534:
	s_or_b64 exec, exec, s[16:17]
	s_waitcnt vmcnt(0)
	global_load_dwordx2 v[6:7], v[4:5], off offset:16
	s_waitcnt vmcnt(0)
	v_cmp_eq_u64_e32 vcc, 0, v[6:7]
	s_cbranch_vccnz .LBB3_536
; %bb.535:
	global_load_dword v4, v[4:5], off offset:24
	v_mov_b32_e32 v5, 0
	s_waitcnt vmcnt(0)
	v_readfirstlane_b32 s14, v4
	s_and_b32 m0, s14, 0xffffff
	global_store_dwordx2 v[6:7], v[4:5], off
	s_sendmsg sendmsg(MSG_INTERRUPT)
.LBB3_536:
	s_or_b64 exec, exec, s[12:13]
	s_branch .LBB3_540
.LBB3_537:                              ;   in Loop: Header=BB3_540 Depth=1
	s_or_b64 exec, exec, s[12:13]
	v_readfirstlane_b32 s12, v4
	s_cmp_eq_u32 s12, 0
	s_cbranch_scc1 .LBB3_539
; %bb.538:                              ;   in Loop: Header=BB3_540 Depth=1
	s_sleep 1
	s_cbranch_execnz .LBB3_540
	s_branch .LBB3_542
.LBB3_539:
	s_branch .LBB3_542
.LBB3_540:                              ; =>This Inner Loop Header: Depth=1
	v_mov_b32_e32 v4, 1
	s_and_saveexec_b64 s[12:13], s[2:3]
	s_cbranch_execz .LBB3_537
; %bb.541:                              ;   in Loop: Header=BB3_540 Depth=1
	global_load_dword v4, v[0:1], off offset:20 glc
	s_waitcnt vmcnt(0)
	buffer_wbinvl1_vol
	v_and_b32_e32 v4, 1, v4
	s_branch .LBB3_537
.LBB3_542:
	global_load_dwordx2 v[6:7], v[10:11], off
	s_and_saveexec_b64 s[12:13], s[2:3]
	s_cbranch_execz .LBB3_545
; %bb.543:
	v_mov_b32_e32 v4, 0
	global_load_dwordx2 v[0:1], v4, s[6:7] offset:40
	global_load_dwordx2 v[12:13], v4, s[6:7] offset:24 glc
	global_load_dwordx2 v[8:9], v4, s[6:7]
	s_waitcnt vmcnt(2)
	v_readfirstlane_b32 s14, v0
	v_readfirstlane_b32 s15, v1
	s_add_u32 s16, s14, 1
	s_addc_u32 s17, s15, 0
	s_add_u32 s2, s16, s8
	s_addc_u32 s3, s17, s9
	s_cmp_eq_u64 s[2:3], 0
	s_cselect_b32 s3, s17, s3
	s_cselect_b32 s2, s16, s2
	s_and_b64 s[8:9], s[2:3], s[14:15]
	s_mul_i32 s9, s9, 24
	s_mul_hi_u32 s14, s8, 24
	s_mul_i32 s8, s8, 24
	s_add_i32 s9, s14, s9
	v_mov_b32_e32 v1, s9
	s_waitcnt vmcnt(0)
	v_add_co_u32_e32 v0, vcc, s8, v8
	v_addc_co_u32_e32 v1, vcc, v9, v1, vcc
	v_mov_b32_e32 v10, s2
	global_store_dwordx2 v[0:1], v[12:13], off
	v_mov_b32_e32 v11, s3
	s_waitcnt vmcnt(0)
	global_atomic_cmpswap_x2 v[10:11], v4, v[10:13], s[6:7] offset:24 glc
	s_mov_b64 s[8:9], 0
	s_waitcnt vmcnt(0)
	v_cmp_ne_u64_e32 vcc, v[10:11], v[12:13]
	s_and_b64 exec, exec, vcc
	s_cbranch_execz .LBB3_545
.LBB3_544:                              ; =>This Inner Loop Header: Depth=1
	s_sleep 1
	global_store_dwordx2 v[0:1], v[10:11], off
	v_mov_b32_e32 v8, s2
	v_mov_b32_e32 v9, s3
	s_waitcnt vmcnt(0)
	global_atomic_cmpswap_x2 v[8:9], v4, v[8:11], s[6:7] offset:24 glc
	s_waitcnt vmcnt(0)
	v_cmp_eq_u64_e32 vcc, v[8:9], v[10:11]
	v_mov_b32_e32 v11, v9
	s_or_b64 s[8:9], vcc, s[8:9]
	v_mov_b32_e32 v10, v8
	s_andn2_b64 exec, exec, s[8:9]
	s_cbranch_execnz .LBB3_544
.LBB3_545:
	s_or_b64 exec, exec, s[12:13]
.LBB3_546:
	v_readfirstlane_b32 s2, v34
	v_mov_b32_e32 v0, 0
	v_mov_b32_e32 v1, 0
	v_cmp_eq_u32_e64 s[2:3], s2, v34
	s_and_saveexec_b64 s[8:9], s[2:3]
	s_cbranch_execz .LBB3_552
; %bb.547:
	s_waitcnt vmcnt(0)
	v_mov_b32_e32 v4, 0
	global_load_dwordx2 v[10:11], v4, s[6:7] offset:24 glc
	s_waitcnt vmcnt(0)
	buffer_wbinvl1_vol
	global_load_dwordx2 v[0:1], v4, s[6:7] offset:40
	global_load_dwordx2 v[8:9], v4, s[6:7]
	s_waitcnt vmcnt(1)
	v_and_b32_e32 v0, v0, v10
	v_and_b32_e32 v1, v1, v11
	v_mul_lo_u32 v1, v1, 24
	v_mul_hi_u32 v5, v0, 24
	v_mul_lo_u32 v0, v0, 24
	v_add_u32_e32 v1, v5, v1
	s_waitcnt vmcnt(0)
	v_add_co_u32_e32 v0, vcc, v8, v0
	v_addc_co_u32_e32 v1, vcc, v9, v1, vcc
	global_load_dwordx2 v[8:9], v[0:1], off glc
	s_waitcnt vmcnt(0)
	global_atomic_cmpswap_x2 v[0:1], v4, v[8:11], s[6:7] offset:24 glc
	s_waitcnt vmcnt(0)
	buffer_wbinvl1_vol
	v_cmp_ne_u64_e32 vcc, v[0:1], v[10:11]
	s_and_saveexec_b64 s[12:13], vcc
	s_cbranch_execz .LBB3_551
; %bb.548:
	s_mov_b64 s[14:15], 0
.LBB3_549:                              ; =>This Inner Loop Header: Depth=1
	s_sleep 1
	global_load_dwordx2 v[8:9], v4, s[6:7] offset:40
	global_load_dwordx2 v[12:13], v4, s[6:7]
	v_mov_b32_e32 v11, v1
	v_mov_b32_e32 v10, v0
	s_waitcnt vmcnt(1)
	v_and_b32_e32 v0, v8, v10
	s_waitcnt vmcnt(0)
	v_mad_u64_u32 v[0:1], s[16:17], v0, 24, v[12:13]
	v_and_b32_e32 v5, v9, v11
	v_mad_u64_u32 v[8:9], s[16:17], v5, 24, v[1:2]
	v_mov_b32_e32 v1, v8
	global_load_dwordx2 v[8:9], v[0:1], off glc
	s_waitcnt vmcnt(0)
	global_atomic_cmpswap_x2 v[0:1], v4, v[8:11], s[6:7] offset:24 glc
	s_waitcnt vmcnt(0)
	buffer_wbinvl1_vol
	v_cmp_eq_u64_e32 vcc, v[0:1], v[10:11]
	s_or_b64 s[14:15], vcc, s[14:15]
	s_andn2_b64 exec, exec, s[14:15]
	s_cbranch_execnz .LBB3_549
; %bb.550:
	s_or_b64 exec, exec, s[14:15]
.LBB3_551:
	s_or_b64 exec, exec, s[12:13]
.LBB3_552:
	s_or_b64 exec, exec, s[8:9]
	v_mov_b32_e32 v9, 0
	global_load_dwordx2 v[4:5], v9, s[6:7] offset:40
	global_load_dwordx4 v[10:13], v9, s[6:7]
	v_readfirstlane_b32 s9, v1
	v_readfirstlane_b32 s8, v0
	s_mov_b64 s[12:13], exec
	s_waitcnt vmcnt(1)
	v_readfirstlane_b32 s14, v4
	v_readfirstlane_b32 s15, v5
	s_and_b64 s[14:15], s[14:15], s[8:9]
	s_mul_i32 s16, s15, 24
	s_mul_hi_u32 s17, s14, 24
	s_mul_i32 s18, s14, 24
	s_add_i32 s16, s17, s16
	v_mov_b32_e32 v1, s16
	s_waitcnt vmcnt(0)
	v_add_co_u32_e32 v0, vcc, s18, v10
	v_addc_co_u32_e32 v1, vcc, v11, v1, vcc
	s_and_saveexec_b64 s[16:17], s[2:3]
	s_cbranch_execz .LBB3_554
; %bb.553:
	v_mov_b32_e32 v15, s13
	v_mov_b32_e32 v14, s12
	;; [unrolled: 1-line block ×4, first 2 shown]
	global_store_dwordx4 v[0:1], v[14:17], off offset:8
.LBB3_554:
	s_or_b64 exec, exec, s[16:17]
	s_lshl_b64 s[12:13], s[14:15], 12
	v_mov_b32_e32 v4, s13
	v_add_co_u32_e32 v5, vcc, s12, v12
	v_addc_co_u32_e32 v4, vcc, v13, v4, vcc
	s_movk_i32 s12, 0xff1f
	v_add_u32_e32 v8, -1, v36
	v_and_or_b32 v6, v6, s12, 32
	v_add_co_u32_e32 v12, vcc, v5, v33
	v_readfirstlane_b32 s16, v5
	v_readfirstlane_b32 s17, v4
	s_mov_b32 s12, 0
	v_addc_co_u32_e32 v13, vcc, 0, v4, vcc
	s_mov_b32 s13, s12
	s_mov_b32 s14, s12
	s_nop 0
	global_store_dwordx4 v33, v[6:9], s[16:17]
	s_mov_b32 s15, s12
	v_mov_b32_e32 v4, s12
	v_mov_b32_e32 v5, s13
	;; [unrolled: 1-line block ×4, first 2 shown]
	global_store_dwordx4 v33, v[4:7], s[16:17] offset:16
	global_store_dwordx4 v33, v[4:7], s[16:17] offset:32
	;; [unrolled: 1-line block ×3, first 2 shown]
	s_and_saveexec_b64 s[12:13], s[2:3]
	s_cbranch_execz .LBB3_562
; %bb.555:
	v_mov_b32_e32 v14, 0
	global_load_dwordx2 v[17:18], v14, s[6:7] offset:32 glc
	global_load_dwordx2 v[4:5], v14, s[6:7] offset:40
	v_mov_b32_e32 v15, s8
	v_mov_b32_e32 v16, s9
	s_waitcnt vmcnt(0)
	v_readfirstlane_b32 s14, v4
	v_readfirstlane_b32 s15, v5
	s_and_b64 s[14:15], s[14:15], s[8:9]
	s_mul_i32 s15, s15, 24
	s_mul_hi_u32 s16, s14, 24
	s_mul_i32 s14, s14, 24
	s_add_i32 s15, s16, s15
	v_mov_b32_e32 v4, s15
	v_add_co_u32_e32 v8, vcc, s14, v10
	v_addc_co_u32_e32 v9, vcc, v11, v4, vcc
	global_store_dwordx2 v[8:9], v[17:18], off
	s_waitcnt vmcnt(0)
	global_atomic_cmpswap_x2 v[6:7], v14, v[15:18], s[6:7] offset:32 glc
	s_waitcnt vmcnt(0)
	v_cmp_ne_u64_e32 vcc, v[6:7], v[17:18]
	s_and_saveexec_b64 s[14:15], vcc
	s_cbranch_execz .LBB3_558
; %bb.556:
	s_mov_b64 s[16:17], 0
.LBB3_557:                              ; =>This Inner Loop Header: Depth=1
	s_sleep 1
	global_store_dwordx2 v[8:9], v[6:7], off
	v_mov_b32_e32 v4, s8
	v_mov_b32_e32 v5, s9
	s_waitcnt vmcnt(0)
	global_atomic_cmpswap_x2 v[4:5], v14, v[4:7], s[6:7] offset:32 glc
	s_waitcnt vmcnt(0)
	v_cmp_eq_u64_e32 vcc, v[4:5], v[6:7]
	v_mov_b32_e32 v7, v5
	s_or_b64 s[16:17], vcc, s[16:17]
	v_mov_b32_e32 v6, v4
	s_andn2_b64 exec, exec, s[16:17]
	s_cbranch_execnz .LBB3_557
.LBB3_558:
	s_or_b64 exec, exec, s[14:15]
	v_mov_b32_e32 v7, 0
	global_load_dwordx2 v[4:5], v7, s[6:7] offset:16
	s_mov_b64 s[14:15], exec
	v_mbcnt_lo_u32_b32 v6, s14, 0
	v_mbcnt_hi_u32_b32 v6, s15, v6
	v_cmp_eq_u32_e32 vcc, 0, v6
	s_and_saveexec_b64 s[16:17], vcc
	s_cbranch_execz .LBB3_560
; %bb.559:
	s_bcnt1_i32_b64 s14, s[14:15]
	v_mov_b32_e32 v6, s14
	s_waitcnt vmcnt(0)
	global_atomic_add_x2 v[4:5], v[6:7], off offset:8
.LBB3_560:
	s_or_b64 exec, exec, s[16:17]
	s_waitcnt vmcnt(0)
	global_load_dwordx2 v[6:7], v[4:5], off offset:16
	s_waitcnt vmcnt(0)
	v_cmp_eq_u64_e32 vcc, 0, v[6:7]
	s_cbranch_vccnz .LBB3_562
; %bb.561:
	global_load_dword v4, v[4:5], off offset:24
	v_mov_b32_e32 v5, 0
	s_waitcnt vmcnt(0)
	v_readfirstlane_b32 s14, v4
	s_and_b32 m0, s14, 0xffffff
	global_store_dwordx2 v[6:7], v[4:5], off
	s_sendmsg sendmsg(MSG_INTERRUPT)
.LBB3_562:
	s_or_b64 exec, exec, s[12:13]
	s_branch .LBB3_566
.LBB3_563:                              ;   in Loop: Header=BB3_566 Depth=1
	s_or_b64 exec, exec, s[12:13]
	v_readfirstlane_b32 s12, v4
	s_cmp_eq_u32 s12, 0
	s_cbranch_scc1 .LBB3_565
; %bb.564:                              ;   in Loop: Header=BB3_566 Depth=1
	s_sleep 1
	s_cbranch_execnz .LBB3_566
	s_branch .LBB3_568
.LBB3_565:
	s_branch .LBB3_568
.LBB3_566:                              ; =>This Inner Loop Header: Depth=1
	v_mov_b32_e32 v4, 1
	s_and_saveexec_b64 s[12:13], s[2:3]
	s_cbranch_execz .LBB3_563
; %bb.567:                              ;   in Loop: Header=BB3_566 Depth=1
	global_load_dword v4, v[0:1], off offset:20 glc
	s_waitcnt vmcnt(0)
	buffer_wbinvl1_vol
	v_and_b32_e32 v4, 1, v4
	s_branch .LBB3_563
.LBB3_568:
	global_load_dwordx2 v[4:5], v[12:13], off
	s_and_saveexec_b64 s[12:13], s[2:3]
	s_cbranch_execz .LBB3_571
; %bb.569:
	v_mov_b32_e32 v10, 0
	global_load_dwordx2 v[0:1], v10, s[6:7] offset:40
	global_load_dwordx2 v[13:14], v10, s[6:7] offset:24 glc
	global_load_dwordx2 v[6:7], v10, s[6:7]
	s_waitcnt vmcnt(2)
	v_readfirstlane_b32 s14, v0
	v_readfirstlane_b32 s15, v1
	s_add_u32 s16, s14, 1
	s_addc_u32 s17, s15, 0
	s_add_u32 s2, s16, s8
	s_addc_u32 s3, s17, s9
	s_cmp_eq_u64 s[2:3], 0
	s_cselect_b32 s3, s17, s3
	s_cselect_b32 s2, s16, s2
	s_and_b64 s[8:9], s[2:3], s[14:15]
	s_mul_i32 s9, s9, 24
	s_mul_hi_u32 s14, s8, 24
	s_mul_i32 s8, s8, 24
	s_add_i32 s9, s14, s9
	v_mov_b32_e32 v1, s9
	s_waitcnt vmcnt(0)
	v_add_co_u32_e32 v0, vcc, s8, v6
	v_addc_co_u32_e32 v1, vcc, v7, v1, vcc
	v_mov_b32_e32 v11, s2
	global_store_dwordx2 v[0:1], v[13:14], off
	v_mov_b32_e32 v12, s3
	s_waitcnt vmcnt(0)
	global_atomic_cmpswap_x2 v[8:9], v10, v[11:14], s[6:7] offset:24 glc
	s_mov_b64 s[8:9], 0
	s_waitcnt vmcnt(0)
	v_cmp_ne_u64_e32 vcc, v[8:9], v[13:14]
	s_and_b64 exec, exec, vcc
	s_cbranch_execz .LBB3_571
.LBB3_570:                              ; =>This Inner Loop Header: Depth=1
	s_sleep 1
	global_store_dwordx2 v[0:1], v[8:9], off
	v_mov_b32_e32 v6, s2
	v_mov_b32_e32 v7, s3
	s_waitcnt vmcnt(0)
	global_atomic_cmpswap_x2 v[6:7], v10, v[6:9], s[6:7] offset:24 glc
	s_waitcnt vmcnt(0)
	v_cmp_eq_u64_e32 vcc, v[6:7], v[8:9]
	v_mov_b32_e32 v9, v7
	s_or_b64 s[8:9], vcc, s[8:9]
	v_mov_b32_e32 v8, v6
	s_andn2_b64 exec, exec, s[8:9]
	s_cbranch_execnz .LBB3_570
.LBB3_571:
	s_or_b64 exec, exec, s[12:13]
	v_readfirstlane_b32 s2, v34
	v_mov_b32_e32 v0, 0
	v_mov_b32_e32 v1, 0
	v_cmp_eq_u32_e64 s[2:3], s2, v34
	s_and_saveexec_b64 s[8:9], s[2:3]
	s_cbranch_execz .LBB3_577
; %bb.572:
	v_mov_b32_e32 v6, 0
	global_load_dwordx2 v[9:10], v6, s[6:7] offset:24 glc
	s_waitcnt vmcnt(0)
	buffer_wbinvl1_vol
	global_load_dwordx2 v[0:1], v6, s[6:7] offset:40
	global_load_dwordx2 v[7:8], v6, s[6:7]
	s_waitcnt vmcnt(1)
	v_and_b32_e32 v0, v0, v9
	v_and_b32_e32 v1, v1, v10
	v_mul_lo_u32 v1, v1, 24
	v_mul_hi_u32 v11, v0, 24
	v_mul_lo_u32 v0, v0, 24
	v_add_u32_e32 v1, v11, v1
	s_waitcnt vmcnt(0)
	v_add_co_u32_e32 v0, vcc, v7, v0
	v_addc_co_u32_e32 v1, vcc, v8, v1, vcc
	global_load_dwordx2 v[7:8], v[0:1], off glc
	s_waitcnt vmcnt(0)
	global_atomic_cmpswap_x2 v[0:1], v6, v[7:10], s[6:7] offset:24 glc
	s_waitcnt vmcnt(0)
	buffer_wbinvl1_vol
	v_cmp_ne_u64_e32 vcc, v[0:1], v[9:10]
	s_and_saveexec_b64 s[12:13], vcc
	s_cbranch_execz .LBB3_576
; %bb.573:
	s_mov_b64 s[14:15], 0
.LBB3_574:                              ; =>This Inner Loop Header: Depth=1
	s_sleep 1
	global_load_dwordx2 v[7:8], v6, s[6:7] offset:40
	global_load_dwordx2 v[11:12], v6, s[6:7]
	v_mov_b32_e32 v10, v1
	v_mov_b32_e32 v9, v0
	s_waitcnt vmcnt(1)
	v_and_b32_e32 v0, v7, v9
	s_waitcnt vmcnt(0)
	v_mad_u64_u32 v[0:1], s[16:17], v0, 24, v[11:12]
	v_and_b32_e32 v7, v8, v10
	v_mad_u64_u32 v[7:8], s[16:17], v7, 24, v[1:2]
	v_mov_b32_e32 v1, v7
	global_load_dwordx2 v[7:8], v[0:1], off glc
	s_waitcnt vmcnt(0)
	global_atomic_cmpswap_x2 v[0:1], v6, v[7:10], s[6:7] offset:24 glc
	s_waitcnt vmcnt(0)
	buffer_wbinvl1_vol
	v_cmp_eq_u64_e32 vcc, v[0:1], v[9:10]
	s_or_b64 s[14:15], vcc, s[14:15]
	s_andn2_b64 exec, exec, s[14:15]
	s_cbranch_execnz .LBB3_574
; %bb.575:
	s_or_b64 exec, exec, s[14:15]
.LBB3_576:
	s_or_b64 exec, exec, s[12:13]
.LBB3_577:
	s_or_b64 exec, exec, s[8:9]
	v_mov_b32_e32 v7, 0
	global_load_dwordx2 v[12:13], v7, s[6:7] offset:40
	global_load_dwordx4 v[8:11], v7, s[6:7]
	v_readfirstlane_b32 s9, v1
	v_readfirstlane_b32 s8, v0
	s_mov_b64 s[12:13], exec
	s_waitcnt vmcnt(1)
	v_readfirstlane_b32 s14, v12
	v_readfirstlane_b32 s15, v13
	s_and_b64 s[14:15], s[14:15], s[8:9]
	s_mul_i32 s16, s15, 24
	s_mul_hi_u32 s17, s14, 24
	s_mul_i32 s18, s14, 24
	s_add_i32 s16, s17, s16
	v_mov_b32_e32 v1, s16
	s_waitcnt vmcnt(0)
	v_add_co_u32_e32 v0, vcc, s18, v8
	v_addc_co_u32_e32 v1, vcc, v9, v1, vcc
	s_and_saveexec_b64 s[16:17], s[2:3]
	s_cbranch_execz .LBB3_579
; %bb.578:
	v_mov_b32_e32 v12, s12
	v_mov_b32_e32 v13, s13
	;; [unrolled: 1-line block ×4, first 2 shown]
	global_store_dwordx4 v[0:1], v[12:15], off offset:8
.LBB3_579:
	s_or_b64 exec, exec, s[16:17]
	s_lshl_b64 s[12:13], s[14:15], 12
	v_mov_b32_e32 v6, s13
	v_add_co_u32_e32 v10, vcc, s12, v10
	v_addc_co_u32_e32 v13, vcc, v11, v6, vcc
	s_mov_b32 s12, 0
	v_add_co_u32_e32 v11, vcc, v10, v33
	s_mov_b32 s15, s12
	v_cndmask_b32_e64 v6, -1, v35, s[0:1]
	s_movk_i32 s0, 0xff1f
	v_addc_co_u32_e32 v12, vcc, 0, v13, vcc
	v_readfirstlane_b32 s1, v13
	s_mov_b32 s13, s12
	s_mov_b32 s14, s12
	v_mov_b32_e32 v16, s15
	v_and_or_b32 v4, v4, s0, 32
	v_readfirstlane_b32 s0, v10
	v_mov_b32_e32 v15, s14
	v_mov_b32_e32 v14, s13
	;; [unrolled: 1-line block ×3, first 2 shown]
	s_nop 1
	global_store_dwordx4 v33, v[4:7], s[0:1]
	global_store_dwordx4 v33, v[13:16], s[0:1] offset:16
	global_store_dwordx4 v33, v[13:16], s[0:1] offset:32
	global_store_dwordx4 v33, v[13:16], s[0:1] offset:48
	s_and_saveexec_b64 s[0:1], s[2:3]
	s_cbranch_execz .LBB3_587
; %bb.580:
	v_mov_b32_e32 v13, 0
	global_load_dwordx2 v[16:17], v13, s[6:7] offset:32 glc
	global_load_dwordx2 v[4:5], v13, s[6:7] offset:40
	v_mov_b32_e32 v14, s8
	v_mov_b32_e32 v15, s9
	s_waitcnt vmcnt(0)
	v_readfirstlane_b32 s12, v4
	v_readfirstlane_b32 s13, v5
	s_and_b64 s[12:13], s[12:13], s[8:9]
	s_mul_i32 s13, s13, 24
	s_mul_hi_u32 s14, s12, 24
	s_mul_i32 s12, s12, 24
	s_add_i32 s13, s14, s13
	v_mov_b32_e32 v5, s13
	v_add_co_u32_e32 v4, vcc, s12, v8
	v_addc_co_u32_e32 v5, vcc, v9, v5, vcc
	global_store_dwordx2 v[4:5], v[16:17], off
	s_waitcnt vmcnt(0)
	global_atomic_cmpswap_x2 v[9:10], v13, v[14:17], s[6:7] offset:32 glc
	s_waitcnt vmcnt(0)
	v_cmp_ne_u64_e32 vcc, v[9:10], v[16:17]
	s_and_saveexec_b64 s[12:13], vcc
	s_cbranch_execz .LBB3_583
; %bb.581:
	s_mov_b64 s[14:15], 0
.LBB3_582:                              ; =>This Inner Loop Header: Depth=1
	s_sleep 1
	global_store_dwordx2 v[4:5], v[9:10], off
	v_mov_b32_e32 v7, s8
	v_mov_b32_e32 v8, s9
	s_waitcnt vmcnt(0)
	global_atomic_cmpswap_x2 v[7:8], v13, v[7:10], s[6:7] offset:32 glc
	s_waitcnt vmcnt(0)
	v_cmp_eq_u64_e32 vcc, v[7:8], v[9:10]
	v_mov_b32_e32 v10, v8
	s_or_b64 s[14:15], vcc, s[14:15]
	v_mov_b32_e32 v9, v7
	s_andn2_b64 exec, exec, s[14:15]
	s_cbranch_execnz .LBB3_582
.LBB3_583:
	s_or_b64 exec, exec, s[12:13]
	v_mov_b32_e32 v8, 0
	global_load_dwordx2 v[4:5], v8, s[6:7] offset:16
	s_mov_b64 s[12:13], exec
	v_mbcnt_lo_u32_b32 v7, s12, 0
	v_mbcnt_hi_u32_b32 v7, s13, v7
	v_cmp_eq_u32_e32 vcc, 0, v7
	s_and_saveexec_b64 s[14:15], vcc
	s_cbranch_execz .LBB3_585
; %bb.584:
	s_bcnt1_i32_b64 s12, s[12:13]
	v_mov_b32_e32 v7, s12
	s_waitcnt vmcnt(0)
	global_atomic_add_x2 v[4:5], v[7:8], off offset:8
.LBB3_585:
	s_or_b64 exec, exec, s[14:15]
	s_waitcnt vmcnt(0)
	global_load_dwordx2 v[7:8], v[4:5], off offset:16
	s_waitcnt vmcnt(0)
	v_cmp_eq_u64_e32 vcc, 0, v[7:8]
	s_cbranch_vccnz .LBB3_587
; %bb.586:
	global_load_dword v4, v[4:5], off offset:24
	v_mov_b32_e32 v5, 0
	s_waitcnt vmcnt(0)
	v_readfirstlane_b32 s12, v4
	s_and_b32 m0, s12, 0xffffff
	global_store_dwordx2 v[7:8], v[4:5], off
	s_sendmsg sendmsg(MSG_INTERRUPT)
.LBB3_587:
	s_or_b64 exec, exec, s[0:1]
	s_branch .LBB3_591
.LBB3_588:                              ;   in Loop: Header=BB3_591 Depth=1
	s_or_b64 exec, exec, s[0:1]
	v_readfirstlane_b32 s0, v4
	s_cmp_eq_u32 s0, 0
	s_cbranch_scc1 .LBB3_590
; %bb.589:                              ;   in Loop: Header=BB3_591 Depth=1
	s_sleep 1
	s_cbranch_execnz .LBB3_591
	s_branch .LBB3_593
.LBB3_590:
	s_branch .LBB3_593
.LBB3_591:                              ; =>This Inner Loop Header: Depth=1
	v_mov_b32_e32 v4, 1
	s_and_saveexec_b64 s[0:1], s[2:3]
	s_cbranch_execz .LBB3_588
; %bb.592:                              ;   in Loop: Header=BB3_591 Depth=1
	global_load_dword v4, v[0:1], off offset:20 glc
	s_waitcnt vmcnt(0)
	buffer_wbinvl1_vol
	v_and_b32_e32 v4, 1, v4
	s_branch .LBB3_588
.LBB3_593:
	global_load_dwordx2 v[0:1], v[11:12], off
	s_and_saveexec_b64 s[0:1], s[2:3]
	s_cbranch_execz .LBB3_596
; %bb.594:
	v_mov_b32_e32 v11, 0
	global_load_dwordx2 v[4:5], v11, s[6:7] offset:40
	global_load_dwordx2 v[14:15], v11, s[6:7] offset:24 glc
	global_load_dwordx2 v[7:8], v11, s[6:7]
	s_waitcnt vmcnt(2)
	v_readfirstlane_b32 s12, v4
	v_readfirstlane_b32 s13, v5
	s_add_u32 s14, s12, 1
	s_addc_u32 s15, s13, 0
	s_add_u32 s2, s14, s8
	s_addc_u32 s3, s15, s9
	s_cmp_eq_u64 s[2:3], 0
	s_cselect_b32 s3, s15, s3
	s_cselect_b32 s2, s14, s2
	s_and_b64 s[8:9], s[2:3], s[12:13]
	s_mul_i32 s9, s9, 24
	s_mul_hi_u32 s12, s8, 24
	s_mul_i32 s8, s8, 24
	s_add_i32 s9, s12, s9
	v_mov_b32_e32 v5, s9
	s_waitcnt vmcnt(0)
	v_add_co_u32_e32 v4, vcc, s8, v7
	v_addc_co_u32_e32 v5, vcc, v8, v5, vcc
	v_mov_b32_e32 v12, s2
	global_store_dwordx2 v[4:5], v[14:15], off
	v_mov_b32_e32 v13, s3
	s_waitcnt vmcnt(0)
	global_atomic_cmpswap_x2 v[9:10], v11, v[12:15], s[6:7] offset:24 glc
	s_mov_b64 s[8:9], 0
	s_waitcnt vmcnt(0)
	v_cmp_ne_u64_e32 vcc, v[9:10], v[14:15]
	s_and_b64 exec, exec, vcc
	s_cbranch_execz .LBB3_596
.LBB3_595:                              ; =>This Inner Loop Header: Depth=1
	s_sleep 1
	global_store_dwordx2 v[4:5], v[9:10], off
	v_mov_b32_e32 v7, s2
	v_mov_b32_e32 v8, s3
	s_waitcnt vmcnt(0)
	global_atomic_cmpswap_x2 v[7:8], v11, v[7:10], s[6:7] offset:24 glc
	s_waitcnt vmcnt(0)
	v_cmp_eq_u64_e32 vcc, v[7:8], v[9:10]
	v_mov_b32_e32 v10, v8
	s_or_b64 s[8:9], vcc, s[8:9]
	v_mov_b32_e32 v9, v7
	s_andn2_b64 exec, exec, s[8:9]
	s_cbranch_execnz .LBB3_595
.LBB3_596:
	s_or_b64 exec, exec, s[0:1]
	v_readfirstlane_b32 s0, v34
	v_mov_b32_e32 v4, 0
	v_mov_b32_e32 v5, 0
	v_cmp_eq_u32_e64 s[0:1], s0, v34
	s_and_saveexec_b64 s[2:3], s[0:1]
	s_cbranch_execz .LBB3_602
; %bb.597:
	v_mov_b32_e32 v7, 0
	global_load_dwordx2 v[10:11], v7, s[6:7] offset:24 glc
	s_waitcnt vmcnt(0)
	buffer_wbinvl1_vol
	global_load_dwordx2 v[4:5], v7, s[6:7] offset:40
	global_load_dwordx2 v[8:9], v7, s[6:7]
	s_waitcnt vmcnt(1)
	v_and_b32_e32 v4, v4, v10
	v_and_b32_e32 v5, v5, v11
	v_mul_lo_u32 v5, v5, 24
	v_mul_hi_u32 v12, v4, 24
	v_mul_lo_u32 v4, v4, 24
	v_add_u32_e32 v5, v12, v5
	s_waitcnt vmcnt(0)
	v_add_co_u32_e32 v4, vcc, v8, v4
	v_addc_co_u32_e32 v5, vcc, v9, v5, vcc
	global_load_dwordx2 v[8:9], v[4:5], off glc
	s_waitcnt vmcnt(0)
	global_atomic_cmpswap_x2 v[4:5], v7, v[8:11], s[6:7] offset:24 glc
	s_waitcnt vmcnt(0)
	buffer_wbinvl1_vol
	v_cmp_ne_u64_e32 vcc, v[4:5], v[10:11]
	s_and_saveexec_b64 s[8:9], vcc
	s_cbranch_execz .LBB3_601
; %bb.598:
	s_mov_b64 s[12:13], 0
.LBB3_599:                              ; =>This Inner Loop Header: Depth=1
	s_sleep 1
	global_load_dwordx2 v[8:9], v7, s[6:7] offset:40
	global_load_dwordx2 v[12:13], v7, s[6:7]
	v_mov_b32_e32 v11, v5
	v_mov_b32_e32 v10, v4
	s_waitcnt vmcnt(1)
	v_and_b32_e32 v4, v8, v10
	s_waitcnt vmcnt(0)
	v_mad_u64_u32 v[4:5], s[14:15], v4, 24, v[12:13]
	v_and_b32_e32 v8, v9, v11
	v_mad_u64_u32 v[8:9], s[14:15], v8, 24, v[5:6]
	v_mov_b32_e32 v5, v8
	global_load_dwordx2 v[8:9], v[4:5], off glc
	s_waitcnt vmcnt(0)
	global_atomic_cmpswap_x2 v[4:5], v7, v[8:11], s[6:7] offset:24 glc
	s_waitcnt vmcnt(0)
	buffer_wbinvl1_vol
	v_cmp_eq_u64_e32 vcc, v[4:5], v[10:11]
	s_or_b64 s[12:13], vcc, s[12:13]
	s_andn2_b64 exec, exec, s[12:13]
	s_cbranch_execnz .LBB3_599
; %bb.600:
	s_or_b64 exec, exec, s[12:13]
.LBB3_601:
	s_or_b64 exec, exec, s[8:9]
.LBB3_602:
	s_or_b64 exec, exec, s[2:3]
	v_mov_b32_e32 v13, 0
	global_load_dwordx2 v[11:12], v13, s[6:7] offset:40
	global_load_dwordx4 v[7:10], v13, s[6:7]
	v_readfirstlane_b32 s3, v5
	v_readfirstlane_b32 s2, v4
	s_mov_b64 s[8:9], exec
	s_waitcnt vmcnt(1)
	v_readfirstlane_b32 s12, v11
	v_readfirstlane_b32 s13, v12
	s_and_b64 s[12:13], s[12:13], s[2:3]
	s_mul_i32 s14, s13, 24
	s_mul_hi_u32 s15, s12, 24
	s_mul_i32 s16, s12, 24
	s_add_i32 s14, s15, s14
	v_mov_b32_e32 v5, s14
	s_waitcnt vmcnt(0)
	v_add_co_u32_e32 v4, vcc, s16, v7
	v_addc_co_u32_e32 v5, vcc, v8, v5, vcc
	s_and_saveexec_b64 s[14:15], s[0:1]
	s_cbranch_execz .LBB3_604
; %bb.603:
	v_mov_b32_e32 v12, s9
	v_mov_b32_e32 v11, s8
	v_mov_b32_e32 v13, 2
	v_mov_b32_e32 v14, 1
	global_store_dwordx4 v[4:5], v[11:14], off offset:8
.LBB3_604:
	s_or_b64 exec, exec, s[14:15]
	s_lshl_b64 s[8:9], s[12:13], 12
	v_mov_b32_e32 v11, s9
	v_add_co_u32_e32 v12, vcc, s8, v9
	v_addc_co_u32_e32 v11, vcc, v10, v11, vcc
	s_movk_i32 s8, 0xff1f
	v_and_or_b32 v0, v0, s8, 32
	v_readfirstlane_b32 s8, v12
	v_readfirstlane_b32 s9, v11
	s_mov_b32 s12, 0
	v_add_co_u32_e32 v9, vcc, v12, v33
	s_mov_b32 s13, s12
	s_mov_b32 s14, s12
	s_nop 0
	global_store_dwordx4 v33, v[0:3], s[8:9]
	s_mov_b32 s15, s12
	v_mov_b32_e32 v0, s12
	v_addc_co_u32_e32 v10, vcc, 0, v11, vcc
	v_mov_b32_e32 v1, s13
	v_mov_b32_e32 v2, s14
	v_mov_b32_e32 v3, s15
	global_store_dwordx4 v33, v[0:3], s[8:9] offset:16
	global_store_dwordx4 v33, v[0:3], s[8:9] offset:32
	;; [unrolled: 1-line block ×3, first 2 shown]
	s_and_saveexec_b64 s[8:9], s[0:1]
	s_cbranch_execz .LBB3_612
; %bb.605:
	v_mov_b32_e32 v11, 0
	global_load_dwordx2 v[14:15], v11, s[6:7] offset:32 glc
	global_load_dwordx2 v[0:1], v11, s[6:7] offset:40
	v_mov_b32_e32 v12, s2
	v_mov_b32_e32 v13, s3
	s_waitcnt vmcnt(0)
	v_readfirstlane_b32 s12, v0
	v_readfirstlane_b32 s13, v1
	s_and_b64 s[12:13], s[12:13], s[2:3]
	s_mul_i32 s13, s13, 24
	s_mul_hi_u32 s14, s12, 24
	s_mul_i32 s12, s12, 24
	s_add_i32 s13, s14, s13
	v_mov_b32_e32 v0, s13
	v_add_co_u32_e32 v7, vcc, s12, v7
	v_addc_co_u32_e32 v8, vcc, v8, v0, vcc
	global_store_dwordx2 v[7:8], v[14:15], off
	s_waitcnt vmcnt(0)
	global_atomic_cmpswap_x2 v[2:3], v11, v[12:15], s[6:7] offset:32 glc
	s_waitcnt vmcnt(0)
	v_cmp_ne_u64_e32 vcc, v[2:3], v[14:15]
	s_and_saveexec_b64 s[12:13], vcc
	s_cbranch_execz .LBB3_608
; %bb.606:
	s_mov_b64 s[14:15], 0
.LBB3_607:                              ; =>This Inner Loop Header: Depth=1
	s_sleep 1
	global_store_dwordx2 v[7:8], v[2:3], off
	v_mov_b32_e32 v0, s2
	v_mov_b32_e32 v1, s3
	s_waitcnt vmcnt(0)
	global_atomic_cmpswap_x2 v[0:1], v11, v[0:3], s[6:7] offset:32 glc
	s_waitcnt vmcnt(0)
	v_cmp_eq_u64_e32 vcc, v[0:1], v[2:3]
	v_mov_b32_e32 v3, v1
	s_or_b64 s[14:15], vcc, s[14:15]
	v_mov_b32_e32 v2, v0
	s_andn2_b64 exec, exec, s[14:15]
	s_cbranch_execnz .LBB3_607
.LBB3_608:
	s_or_b64 exec, exec, s[12:13]
	v_mov_b32_e32 v3, 0
	global_load_dwordx2 v[0:1], v3, s[6:7] offset:16
	s_mov_b64 s[12:13], exec
	v_mbcnt_lo_u32_b32 v2, s12, 0
	v_mbcnt_hi_u32_b32 v2, s13, v2
	v_cmp_eq_u32_e32 vcc, 0, v2
	s_and_saveexec_b64 s[14:15], vcc
	s_cbranch_execz .LBB3_610
; %bb.609:
	s_bcnt1_i32_b64 s12, s[12:13]
	v_mov_b32_e32 v2, s12
	s_waitcnt vmcnt(0)
	global_atomic_add_x2 v[0:1], v[2:3], off offset:8
.LBB3_610:
	s_or_b64 exec, exec, s[14:15]
	s_waitcnt vmcnt(0)
	global_load_dwordx2 v[2:3], v[0:1], off offset:16
	s_waitcnt vmcnt(0)
	v_cmp_eq_u64_e32 vcc, 0, v[2:3]
	s_cbranch_vccnz .LBB3_612
; %bb.611:
	global_load_dword v0, v[0:1], off offset:24
	v_mov_b32_e32 v1, 0
	s_waitcnt vmcnt(0)
	v_readfirstlane_b32 s12, v0
	s_and_b32 m0, s12, 0xffffff
	global_store_dwordx2 v[2:3], v[0:1], off
	s_sendmsg sendmsg(MSG_INTERRUPT)
.LBB3_612:
	s_or_b64 exec, exec, s[8:9]
	s_branch .LBB3_616
.LBB3_613:                              ;   in Loop: Header=BB3_616 Depth=1
	s_or_b64 exec, exec, s[8:9]
	v_readfirstlane_b32 s8, v0
	s_cmp_eq_u32 s8, 0
	s_cbranch_scc1 .LBB3_615
; %bb.614:                              ;   in Loop: Header=BB3_616 Depth=1
	s_sleep 1
	s_cbranch_execnz .LBB3_616
	s_branch .LBB3_618
.LBB3_615:
	s_branch .LBB3_618
.LBB3_616:                              ; =>This Inner Loop Header: Depth=1
	v_mov_b32_e32 v0, 1
	s_and_saveexec_b64 s[8:9], s[0:1]
	s_cbranch_execz .LBB3_613
; %bb.617:                              ;   in Loop: Header=BB3_616 Depth=1
	global_load_dword v0, v[4:5], off offset:20 glc
	s_waitcnt vmcnt(0)
	buffer_wbinvl1_vol
	v_and_b32_e32 v0, 1, v0
	s_branch .LBB3_613
.LBB3_618:
	global_load_dwordx2 v[0:1], v[9:10], off
	s_and_saveexec_b64 s[8:9], s[0:1]
	s_cbranch_execz .LBB3_621
; %bb.619:
	v_mov_b32_e32 v9, 0
	global_load_dwordx2 v[2:3], v9, s[6:7] offset:40
	global_load_dwordx2 v[12:13], v9, s[6:7] offset:24 glc
	global_load_dwordx2 v[4:5], v9, s[6:7]
	s_waitcnt vmcnt(2)
	v_readfirstlane_b32 s12, v2
	v_readfirstlane_b32 s13, v3
	s_add_u32 s14, s12, 1
	s_addc_u32 s15, s13, 0
	s_add_u32 s0, s14, s2
	s_addc_u32 s1, s15, s3
	s_cmp_eq_u64 s[0:1], 0
	s_cselect_b32 s1, s15, s1
	s_cselect_b32 s0, s14, s0
	s_and_b64 s[2:3], s[0:1], s[12:13]
	s_mul_i32 s3, s3, 24
	s_mul_hi_u32 s12, s2, 24
	s_mul_i32 s2, s2, 24
	s_add_i32 s3, s12, s3
	v_mov_b32_e32 v2, s3
	s_waitcnt vmcnt(0)
	v_add_co_u32_e32 v7, vcc, s2, v4
	v_addc_co_u32_e32 v8, vcc, v5, v2, vcc
	v_mov_b32_e32 v10, s0
	global_store_dwordx2 v[7:8], v[12:13], off
	v_mov_b32_e32 v11, s1
	s_waitcnt vmcnt(0)
	global_atomic_cmpswap_x2 v[4:5], v9, v[10:13], s[6:7] offset:24 glc
	s_mov_b64 s[2:3], 0
	s_waitcnt vmcnt(0)
	v_cmp_ne_u64_e32 vcc, v[4:5], v[12:13]
	s_and_b64 exec, exec, vcc
	s_cbranch_execz .LBB3_621
.LBB3_620:                              ; =>This Inner Loop Header: Depth=1
	s_sleep 1
	global_store_dwordx2 v[7:8], v[4:5], off
	v_mov_b32_e32 v2, s0
	v_mov_b32_e32 v3, s1
	s_waitcnt vmcnt(0)
	global_atomic_cmpswap_x2 v[2:3], v9, v[2:5], s[6:7] offset:24 glc
	s_waitcnt vmcnt(0)
	v_cmp_eq_u64_e32 vcc, v[2:3], v[4:5]
	v_mov_b32_e32 v5, v3
	s_or_b64 s[2:3], vcc, s[2:3]
	v_mov_b32_e32 v4, v2
	s_andn2_b64 exec, exec, s[2:3]
	s_cbranch_execnz .LBB3_620
.LBB3_621:
	s_or_b64 exec, exec, s[8:9]
	v_readfirstlane_b32 s0, v34
	v_mov_b32_e32 v2, 0
	v_mov_b32_e32 v3, 0
	v_cmp_eq_u32_e64 s[0:1], s0, v34
	s_and_saveexec_b64 s[2:3], s[0:1]
	s_cbranch_execz .LBB3_627
; %bb.622:
	v_mov_b32_e32 v4, 0
	global_load_dwordx2 v[9:10], v4, s[6:7] offset:24 glc
	s_waitcnt vmcnt(0)
	buffer_wbinvl1_vol
	global_load_dwordx2 v[2:3], v4, s[6:7] offset:40
	global_load_dwordx2 v[7:8], v4, s[6:7]
	s_waitcnt vmcnt(1)
	v_and_b32_e32 v2, v2, v9
	v_and_b32_e32 v3, v3, v10
	v_mul_lo_u32 v3, v3, 24
	v_mul_hi_u32 v5, v2, 24
	v_mul_lo_u32 v2, v2, 24
	v_add_u32_e32 v3, v5, v3
	s_waitcnt vmcnt(0)
	v_add_co_u32_e32 v2, vcc, v7, v2
	v_addc_co_u32_e32 v3, vcc, v8, v3, vcc
	global_load_dwordx2 v[7:8], v[2:3], off glc
	s_waitcnt vmcnt(0)
	global_atomic_cmpswap_x2 v[2:3], v4, v[7:10], s[6:7] offset:24 glc
	s_waitcnt vmcnt(0)
	buffer_wbinvl1_vol
	v_cmp_ne_u64_e32 vcc, v[2:3], v[9:10]
	s_and_saveexec_b64 s[8:9], vcc
	s_cbranch_execz .LBB3_626
; %bb.623:
	s_mov_b64 s[12:13], 0
.LBB3_624:                              ; =>This Inner Loop Header: Depth=1
	s_sleep 1
	global_load_dwordx2 v[7:8], v4, s[6:7] offset:40
	global_load_dwordx2 v[11:12], v4, s[6:7]
	v_mov_b32_e32 v10, v3
	v_mov_b32_e32 v9, v2
	s_waitcnt vmcnt(1)
	v_and_b32_e32 v2, v7, v9
	s_waitcnt vmcnt(0)
	v_mad_u64_u32 v[2:3], s[14:15], v2, 24, v[11:12]
	v_and_b32_e32 v5, v8, v10
	v_mad_u64_u32 v[7:8], s[14:15], v5, 24, v[3:4]
	v_mov_b32_e32 v3, v7
	global_load_dwordx2 v[7:8], v[2:3], off glc
	s_waitcnt vmcnt(0)
	global_atomic_cmpswap_x2 v[2:3], v4, v[7:10], s[6:7] offset:24 glc
	s_waitcnt vmcnt(0)
	buffer_wbinvl1_vol
	v_cmp_eq_u64_e32 vcc, v[2:3], v[9:10]
	s_or_b64 s[12:13], vcc, s[12:13]
	s_andn2_b64 exec, exec, s[12:13]
	s_cbranch_execnz .LBB3_624
; %bb.625:
	s_or_b64 exec, exec, s[12:13]
.LBB3_626:
	s_or_b64 exec, exec, s[8:9]
.LBB3_627:
	s_or_b64 exec, exec, s[2:3]
	v_mov_b32_e32 v11, 0
	global_load_dwordx2 v[4:5], v11, s[6:7] offset:40
	global_load_dwordx4 v[7:10], v11, s[6:7]
	v_readfirstlane_b32 s3, v3
	v_readfirstlane_b32 s2, v2
	s_mov_b64 s[8:9], exec
	s_waitcnt vmcnt(1)
	v_readfirstlane_b32 s12, v4
	v_readfirstlane_b32 s13, v5
	s_and_b64 s[12:13], s[12:13], s[2:3]
	s_mul_i32 s14, s13, 24
	s_mul_hi_u32 s15, s12, 24
	s_mul_i32 s16, s12, 24
	s_add_i32 s14, s15, s14
	v_mov_b32_e32 v2, s14
	s_waitcnt vmcnt(0)
	v_add_co_u32_e32 v4, vcc, s16, v7
	v_addc_co_u32_e32 v5, vcc, v8, v2, vcc
	s_and_saveexec_b64 s[14:15], s[0:1]
	s_cbranch_execz .LBB3_629
; %bb.628:
	v_mov_b32_e32 v12, s9
	v_mov_b32_e32 v11, s8
	;; [unrolled: 1-line block ×4, first 2 shown]
	global_store_dwordx4 v[4:5], v[11:14], off offset:8
.LBB3_629:
	s_or_b64 exec, exec, s[14:15]
	s_lshl_b64 s[8:9], s[12:13], 12
	v_mov_b32_e32 v2, s9
	v_add_co_u32_e32 v9, vcc, s8, v9
	v_addc_co_u32_e32 v10, vcc, v10, v2, vcc
	s_movk_i32 s8, 0xff1d
	v_and_or_b32 v0, v0, s8, 34
	v_mov_b32_e32 v2, s10
	v_mov_b32_e32 v3, s11
	v_readfirstlane_b32 s12, v9
	v_readfirstlane_b32 s13, v10
	s_mov_b32 s8, 0
	s_mov_b32 s9, s8
	;; [unrolled: 1-line block ×4, first 2 shown]
	s_nop 0
	global_store_dwordx4 v33, v[0:3], s[12:13]
	s_nop 0
	v_mov_b32_e32 v0, s8
	v_mov_b32_e32 v1, s9
	;; [unrolled: 1-line block ×4, first 2 shown]
	global_store_dwordx4 v33, v[0:3], s[12:13] offset:16
	global_store_dwordx4 v33, v[0:3], s[12:13] offset:32
	;; [unrolled: 1-line block ×3, first 2 shown]
	s_and_saveexec_b64 s[8:9], s[0:1]
	s_cbranch_execz .LBB3_637
; %bb.630:
	v_mov_b32_e32 v9, 0
	global_load_dwordx2 v[12:13], v9, s[6:7] offset:32 glc
	global_load_dwordx2 v[0:1], v9, s[6:7] offset:40
	v_mov_b32_e32 v10, s2
	v_mov_b32_e32 v11, s3
	s_waitcnt vmcnt(0)
	v_readfirstlane_b32 s10, v0
	v_readfirstlane_b32 s11, v1
	s_and_b64 s[10:11], s[10:11], s[2:3]
	s_mul_i32 s11, s11, 24
	s_mul_hi_u32 s12, s10, 24
	s_mul_i32 s10, s10, 24
	s_add_i32 s11, s12, s11
	v_mov_b32_e32 v0, s11
	v_add_co_u32_e32 v7, vcc, s10, v7
	v_addc_co_u32_e32 v8, vcc, v8, v0, vcc
	global_store_dwordx2 v[7:8], v[12:13], off
	s_waitcnt vmcnt(0)
	global_atomic_cmpswap_x2 v[2:3], v9, v[10:13], s[6:7] offset:32 glc
	s_waitcnt vmcnt(0)
	v_cmp_ne_u64_e32 vcc, v[2:3], v[12:13]
	s_and_saveexec_b64 s[10:11], vcc
	s_cbranch_execz .LBB3_633
; %bb.631:
	s_mov_b64 s[12:13], 0
.LBB3_632:                              ; =>This Inner Loop Header: Depth=1
	s_sleep 1
	global_store_dwordx2 v[7:8], v[2:3], off
	v_mov_b32_e32 v0, s2
	v_mov_b32_e32 v1, s3
	s_waitcnt vmcnt(0)
	global_atomic_cmpswap_x2 v[0:1], v9, v[0:3], s[6:7] offset:32 glc
	s_waitcnt vmcnt(0)
	v_cmp_eq_u64_e32 vcc, v[0:1], v[2:3]
	v_mov_b32_e32 v3, v1
	s_or_b64 s[12:13], vcc, s[12:13]
	v_mov_b32_e32 v2, v0
	s_andn2_b64 exec, exec, s[12:13]
	s_cbranch_execnz .LBB3_632
.LBB3_633:
	s_or_b64 exec, exec, s[10:11]
	v_mov_b32_e32 v3, 0
	global_load_dwordx2 v[0:1], v3, s[6:7] offset:16
	s_mov_b64 s[10:11], exec
	v_mbcnt_lo_u32_b32 v2, s10, 0
	v_mbcnt_hi_u32_b32 v2, s11, v2
	v_cmp_eq_u32_e32 vcc, 0, v2
	s_and_saveexec_b64 s[12:13], vcc
	s_cbranch_execz .LBB3_635
; %bb.634:
	s_bcnt1_i32_b64 s10, s[10:11]
	v_mov_b32_e32 v2, s10
	s_waitcnt vmcnt(0)
	global_atomic_add_x2 v[0:1], v[2:3], off offset:8
.LBB3_635:
	s_or_b64 exec, exec, s[12:13]
	s_waitcnt vmcnt(0)
	global_load_dwordx2 v[2:3], v[0:1], off offset:16
	s_waitcnt vmcnt(0)
	v_cmp_eq_u64_e32 vcc, 0, v[2:3]
	s_cbranch_vccnz .LBB3_637
; %bb.636:
	global_load_dword v0, v[0:1], off offset:24
	v_mov_b32_e32 v1, 0
	s_waitcnt vmcnt(0)
	v_readfirstlane_b32 s10, v0
	s_and_b32 m0, s10, 0xffffff
	global_store_dwordx2 v[2:3], v[0:1], off
	s_sendmsg sendmsg(MSG_INTERRUPT)
.LBB3_637:
	s_or_b64 exec, exec, s[8:9]
	s_branch .LBB3_641
.LBB3_638:                              ;   in Loop: Header=BB3_641 Depth=1
	s_or_b64 exec, exec, s[8:9]
	v_readfirstlane_b32 s8, v0
	s_cmp_eq_u32 s8, 0
	s_cbranch_scc1 .LBB3_640
; %bb.639:                              ;   in Loop: Header=BB3_641 Depth=1
	s_sleep 1
	s_cbranch_execnz .LBB3_641
	s_branch .LBB3_643
.LBB3_640:
	s_branch .LBB3_643
.LBB3_641:                              ; =>This Inner Loop Header: Depth=1
	v_mov_b32_e32 v0, 1
	s_and_saveexec_b64 s[8:9], s[0:1]
	s_cbranch_execz .LBB3_638
; %bb.642:                              ;   in Loop: Header=BB3_641 Depth=1
	global_load_dword v0, v[4:5], off offset:20 glc
	s_waitcnt vmcnt(0)
	buffer_wbinvl1_vol
	v_and_b32_e32 v0, 1, v0
	s_branch .LBB3_638
.LBB3_643:
	s_and_saveexec_b64 s[8:9], s[0:1]
	s_cbranch_execz .LBB3_646
; %bb.644:
	v_mov_b32_e32 v7, 0
	global_load_dwordx2 v[0:1], v7, s[6:7] offset:40
	global_load_dwordx2 v[10:11], v7, s[6:7] offset:24 glc
	global_load_dwordx2 v[2:3], v7, s[6:7]
	s_waitcnt vmcnt(2)
	v_readfirstlane_b32 s10, v0
	v_readfirstlane_b32 s11, v1
	s_add_u32 s12, s10, 1
	s_addc_u32 s13, s11, 0
	s_add_u32 s0, s12, s2
	s_addc_u32 s1, s13, s3
	s_cmp_eq_u64 s[0:1], 0
	s_cselect_b32 s1, s13, s1
	s_cselect_b32 s0, s12, s0
	s_and_b64 s[2:3], s[0:1], s[10:11]
	s_mul_i32 s3, s3, 24
	s_mul_hi_u32 s10, s2, 24
	s_mul_i32 s2, s2, 24
	s_add_i32 s3, s10, s3
	v_mov_b32_e32 v0, s3
	s_waitcnt vmcnt(0)
	v_add_co_u32_e32 v4, vcc, s2, v2
	v_addc_co_u32_e32 v5, vcc, v3, v0, vcc
	v_mov_b32_e32 v8, s0
	global_store_dwordx2 v[4:5], v[10:11], off
	v_mov_b32_e32 v9, s1
	s_waitcnt vmcnt(0)
	global_atomic_cmpswap_x2 v[2:3], v7, v[8:11], s[6:7] offset:24 glc
	s_mov_b64 s[2:3], 0
	s_waitcnt vmcnt(0)
	v_cmp_ne_u64_e32 vcc, v[2:3], v[10:11]
	s_and_b64 exec, exec, vcc
	s_cbranch_execz .LBB3_646
.LBB3_645:                              ; =>This Inner Loop Header: Depth=1
	s_sleep 1
	global_store_dwordx2 v[4:5], v[2:3], off
	v_mov_b32_e32 v0, s0
	v_mov_b32_e32 v1, s1
	s_waitcnt vmcnt(0)
	global_atomic_cmpswap_x2 v[0:1], v7, v[0:3], s[6:7] offset:24 glc
	s_waitcnt vmcnt(0)
	v_cmp_eq_u64_e32 vcc, v[0:1], v[2:3]
	v_mov_b32_e32 v3, v1
	s_or_b64 s[2:3], vcc, s[2:3]
	v_mov_b32_e32 v2, v0
	s_andn2_b64 exec, exec, s[2:3]
	s_cbranch_execnz .LBB3_645
.LBB3_646:
	s_or_b64 exec, exec, s[8:9]
	v_cvt_f32_u32_e32 v0, s30
	s_sub_i32 s0, 0, s30
	v_rcp_iflag_f32_e32 v0, v0
	v_mul_f32_e32 v0, 0x4f7ffffe, v0
	v_cvt_u32_f32_e32 v0, v0
	v_mul_lo_u32 v1, s0, v0
	s_load_dwordx2 s[0:1], s[4:5], 0x8
	v_mul_hi_u32 v1, v0, v1
	v_add_u32_e32 v0, v0, v1
	v_mul_hi_u32 v0, v32, v0
	v_mul_lo_u32 v1, v0, s30
	v_add_u32_e32 v2, 1, v0
	v_sub_u32_e32 v1, v32, v1
	v_cmp_le_u32_e32 vcc, s30, v1
	v_cndmask_b32_e32 v0, v0, v2, vcc
	v_subrev_u32_e32 v2, s30, v1
	v_cndmask_b32_e32 v1, v1, v2, vcc
	v_add_u32_e32 v2, 1, v0
	v_cmp_le_u32_e32 vcc, s30, v1
	v_cndmask_b32_e32 v0, v0, v2, vcc
	v_lshlrev_b32_e32 v0, 2, v0
	s_waitcnt lgkmcnt(0)
	global_store_dword v0, v6, s[0:1]
.LBB3_647:
	s_endpgm
	.section	.rodata,"a",@progbits
	.p2align	6, 0x0
	.amdhsa_kernel _Z35kernel_cg_coalesced_group_partitionjPibS_i
		.amdhsa_group_segment_fixed_size 0
		.amdhsa_private_segment_fixed_size 0
		.amdhsa_kernarg_size 296
		.amdhsa_user_sgpr_count 6
		.amdhsa_user_sgpr_private_segment_buffer 1
		.amdhsa_user_sgpr_dispatch_ptr 0
		.amdhsa_user_sgpr_queue_ptr 0
		.amdhsa_user_sgpr_kernarg_segment_ptr 1
		.amdhsa_user_sgpr_dispatch_id 0
		.amdhsa_user_sgpr_flat_scratch_init 0
		.amdhsa_user_sgpr_private_segment_size 0
		.amdhsa_uses_dynamic_stack 0
		.amdhsa_system_sgpr_private_segment_wavefront_offset 0
		.amdhsa_system_sgpr_workgroup_id_x 1
		.amdhsa_system_sgpr_workgroup_id_y 0
		.amdhsa_system_sgpr_workgroup_id_z 0
		.amdhsa_system_sgpr_workgroup_info 0
		.amdhsa_system_vgpr_workitem_id 0
		.amdhsa_next_free_vgpr 37
		.amdhsa_next_free_sgpr 34
		.amdhsa_reserve_vcc 1
		.amdhsa_reserve_flat_scratch 0
		.amdhsa_float_round_mode_32 0
		.amdhsa_float_round_mode_16_64 0
		.amdhsa_float_denorm_mode_32 3
		.amdhsa_float_denorm_mode_16_64 3
		.amdhsa_dx10_clamp 1
		.amdhsa_ieee_mode 1
		.amdhsa_fp16_overflow 0
		.amdhsa_exception_fp_ieee_invalid_op 0
		.amdhsa_exception_fp_denorm_src 0
		.amdhsa_exception_fp_ieee_div_zero 0
		.amdhsa_exception_fp_ieee_overflow 0
		.amdhsa_exception_fp_ieee_underflow 0
		.amdhsa_exception_fp_ieee_inexact 0
		.amdhsa_exception_int_div_zero 0
	.end_amdhsa_kernel
	.text
.Lfunc_end3:
	.size	_Z35kernel_cg_coalesced_group_partitionjPibS_i, .Lfunc_end3-_Z35kernel_cg_coalesced_group_partitionjPibS_i
                                        ; -- End function
	.set _Z35kernel_cg_coalesced_group_partitionjPibS_i.num_vgpr, 37
	.set _Z35kernel_cg_coalesced_group_partitionjPibS_i.num_agpr, 0
	.set _Z35kernel_cg_coalesced_group_partitionjPibS_i.numbered_sgpr, 34
	.set _Z35kernel_cg_coalesced_group_partitionjPibS_i.num_named_barrier, 0
	.set _Z35kernel_cg_coalesced_group_partitionjPibS_i.private_seg_size, 0
	.set _Z35kernel_cg_coalesced_group_partitionjPibS_i.uses_vcc, 1
	.set _Z35kernel_cg_coalesced_group_partitionjPibS_i.uses_flat_scratch, 0
	.set _Z35kernel_cg_coalesced_group_partitionjPibS_i.has_dyn_sized_stack, 0
	.set _Z35kernel_cg_coalesced_group_partitionjPibS_i.has_recursion, 0
	.set _Z35kernel_cg_coalesced_group_partitionjPibS_i.has_indirect_call, 0
	.section	.AMDGPU.csdata,"",@progbits
; Kernel info:
; codeLenInByte = 24452
; TotalNumSgprs: 38
; NumVgprs: 37
; ScratchSize: 0
; MemoryBound: 0
; FloatMode: 240
; IeeeMode: 1
; LDSByteSize: 0 bytes/workgroup (compile time only)
; SGPRBlocks: 4
; VGPRBlocks: 9
; NumSGPRsForWavesPerEU: 38
; NumVGPRsForWavesPerEU: 37
; Occupancy: 6
; WaveLimiterHint : 1
; COMPUTE_PGM_RSRC2:SCRATCH_EN: 0
; COMPUTE_PGM_RSRC2:USER_SGPR: 6
; COMPUTE_PGM_RSRC2:TRAP_HANDLER: 0
; COMPUTE_PGM_RSRC2:TGID_X_EN: 1
; COMPUTE_PGM_RSRC2:TGID_Y_EN: 0
; COMPUTE_PGM_RSRC2:TGID_Z_EN: 0
; COMPUTE_PGM_RSRC2:TIDIG_COMP_CNT: 0
	.text
	.protected	_Z30kernel_coalesced_active_groupsv ; -- Begin function _Z30kernel_coalesced_active_groupsv
	.globl	_Z30kernel_coalesced_active_groupsv
	.p2align	8
	.type	_Z30kernel_coalesced_active_groupsv,@function
_Z30kernel_coalesced_active_groupsv:    ; @_Z30kernel_coalesced_active_groupsv
; %bb.0:
	s_load_dword s0, s[4:5], 0xc
	s_waitcnt lgkmcnt(0)
	s_lshr_b32 s1, s0, 16
	s_and_b32 s0, s0, 0xffff
	v_mad_u32_u24 v1, v2, s1, v1
	v_mad_u64_u32 v[2:3], s[0:1], v1, s0, v[0:1]
	v_cmp_eq_u32_e32 vcc, 0, v2
	s_and_saveexec_b64 s[2:3], vcc
	s_cbranch_execz .LBB4_138
; %bb.1:
	s_load_dwordx2 s[6:7], s[4:5], 0x50
	v_mbcnt_lo_u32_b32 v0, -1, 0
	v_mbcnt_hi_u32_b32 v32, -1, v0
	v_readfirstlane_b32 s0, v32
	v_mov_b32_e32 v0, 0
	v_mov_b32_e32 v1, 0
	v_cmp_eq_u32_e64 s[0:1], s0, v32
	s_and_saveexec_b64 s[8:9], s[0:1]
	s_cbranch_execz .LBB4_7
; %bb.2:
	v_mov_b32_e32 v3, 0
	s_waitcnt lgkmcnt(0)
	global_load_dwordx2 v[6:7], v3, s[6:7] offset:24 glc
	s_waitcnt vmcnt(0)
	buffer_wbinvl1_vol
	global_load_dwordx2 v[0:1], v3, s[6:7] offset:40
	global_load_dwordx2 v[4:5], v3, s[6:7]
	s_waitcnt vmcnt(1)
	v_and_b32_e32 v0, v0, v6
	v_and_b32_e32 v1, v1, v7
	v_mul_lo_u32 v1, v1, 24
	v_mul_hi_u32 v8, v0, 24
	v_mul_lo_u32 v0, v0, 24
	v_add_u32_e32 v1, v8, v1
	s_waitcnt vmcnt(0)
	v_add_co_u32_e32 v0, vcc, v4, v0
	v_addc_co_u32_e32 v1, vcc, v5, v1, vcc
	global_load_dwordx2 v[4:5], v[0:1], off glc
	s_waitcnt vmcnt(0)
	global_atomic_cmpswap_x2 v[0:1], v3, v[4:7], s[6:7] offset:24 glc
	s_waitcnt vmcnt(0)
	buffer_wbinvl1_vol
	v_cmp_ne_u64_e32 vcc, v[0:1], v[6:7]
	s_and_saveexec_b64 s[10:11], vcc
	s_cbranch_execz .LBB4_6
; %bb.3:
	s_mov_b64 s[12:13], 0
.LBB4_4:                                ; =>This Inner Loop Header: Depth=1
	s_sleep 1
	global_load_dwordx2 v[4:5], v3, s[6:7] offset:40
	global_load_dwordx2 v[8:9], v3, s[6:7]
	v_mov_b32_e32 v7, v1
	v_mov_b32_e32 v6, v0
	s_waitcnt vmcnt(1)
	v_and_b32_e32 v0, v4, v6
	s_waitcnt vmcnt(0)
	v_mad_u64_u32 v[0:1], s[14:15], v0, 24, v[8:9]
	v_and_b32_e32 v4, v5, v7
	v_mad_u64_u32 v[4:5], s[14:15], v4, 24, v[1:2]
	v_mov_b32_e32 v1, v4
	global_load_dwordx2 v[4:5], v[0:1], off glc
	s_waitcnt vmcnt(0)
	global_atomic_cmpswap_x2 v[0:1], v3, v[4:7], s[6:7] offset:24 glc
	s_waitcnt vmcnt(0)
	buffer_wbinvl1_vol
	v_cmp_eq_u64_e32 vcc, v[0:1], v[6:7]
	s_or_b64 s[12:13], vcc, s[12:13]
	s_andn2_b64 exec, exec, s[12:13]
	s_cbranch_execnz .LBB4_4
; %bb.5:
	s_or_b64 exec, exec, s[12:13]
.LBB4_6:
	s_or_b64 exec, exec, s[10:11]
.LBB4_7:
	s_or_b64 exec, exec, s[8:9]
	v_mov_b32_e32 v7, 0
	s_waitcnt lgkmcnt(0)
	global_load_dwordx2 v[8:9], v7, s[6:7] offset:40
	global_load_dwordx4 v[3:6], v7, s[6:7]
	v_readfirstlane_b32 s9, v1
	v_readfirstlane_b32 s8, v0
	s_mov_b64 s[10:11], exec
	s_waitcnt vmcnt(1)
	v_readfirstlane_b32 s12, v8
	v_readfirstlane_b32 s13, v9
	s_and_b64 s[12:13], s[12:13], s[8:9]
	s_mul_i32 s14, s13, 24
	s_mul_hi_u32 s15, s12, 24
	s_mul_i32 s16, s12, 24
	s_add_i32 s14, s15, s14
	v_mov_b32_e32 v1, s14
	s_waitcnt vmcnt(0)
	v_add_co_u32_e32 v0, vcc, s16, v3
	v_addc_co_u32_e32 v1, vcc, v4, v1, vcc
	s_and_saveexec_b64 s[14:15], s[0:1]
	s_cbranch_execz .LBB4_9
; %bb.8:
	v_mov_b32_e32 v8, s10
	v_mov_b32_e32 v9, s11
	;; [unrolled: 1-line block ×4, first 2 shown]
	global_store_dwordx4 v[0:1], v[8:11], off offset:8
.LBB4_9:
	s_or_b64 exec, exec, s[14:15]
	s_lshl_b64 s[10:11], s[12:13], 12
	v_mov_b32_e32 v8, s11
	v_add_co_u32_e32 v5, vcc, s10, v5
	v_addc_co_u32_e32 v12, vcc, v6, v8, vcc
	v_lshlrev_b32_e32 v31, 6, v32
	s_mov_b32 s12, 0
	v_mov_b32_e32 v6, 33
	v_mov_b32_e32 v8, v7
	;; [unrolled: 1-line block ×3, first 2 shown]
	v_readfirstlane_b32 s10, v5
	v_readfirstlane_b32 s11, v12
	v_add_co_u32_e32 v10, vcc, v5, v31
	s_mov_b32 s13, s12
	s_mov_b32 s14, s12
	;; [unrolled: 1-line block ×3, first 2 shown]
	s_nop 0
	global_store_dwordx4 v31, v[6:9], s[10:11]
	v_mov_b32_e32 v5, s12
	v_addc_co_u32_e32 v11, vcc, 0, v12, vcc
	v_mov_b32_e32 v6, s13
	v_mov_b32_e32 v7, s14
	;; [unrolled: 1-line block ×3, first 2 shown]
	global_store_dwordx4 v31, v[5:8], s[10:11] offset:16
	global_store_dwordx4 v31, v[5:8], s[10:11] offset:32
	;; [unrolled: 1-line block ×3, first 2 shown]
	s_and_saveexec_b64 s[10:11], s[0:1]
	s_cbranch_execz .LBB4_17
; %bb.10:
	v_mov_b32_e32 v9, 0
	global_load_dwordx2 v[14:15], v9, s[6:7] offset:32 glc
	global_load_dwordx2 v[5:6], v9, s[6:7] offset:40
	v_mov_b32_e32 v12, s8
	v_mov_b32_e32 v13, s9
	s_waitcnt vmcnt(0)
	v_and_b32_e32 v5, s8, v5
	v_and_b32_e32 v6, s9, v6
	v_mul_lo_u32 v6, v6, 24
	v_mul_hi_u32 v7, v5, 24
	v_mul_lo_u32 v5, v5, 24
	v_add_u32_e32 v6, v7, v6
	v_add_co_u32_e32 v7, vcc, v3, v5
	v_addc_co_u32_e32 v8, vcc, v4, v6, vcc
	global_store_dwordx2 v[7:8], v[14:15], off
	s_waitcnt vmcnt(0)
	global_atomic_cmpswap_x2 v[5:6], v9, v[12:15], s[6:7] offset:32 glc
	s_waitcnt vmcnt(0)
	v_cmp_ne_u64_e32 vcc, v[5:6], v[14:15]
	s_and_saveexec_b64 s[12:13], vcc
	s_cbranch_execz .LBB4_13
; %bb.11:
	s_mov_b64 s[14:15], 0
.LBB4_12:                               ; =>This Inner Loop Header: Depth=1
	s_sleep 1
	global_store_dwordx2 v[7:8], v[5:6], off
	v_mov_b32_e32 v3, s8
	v_mov_b32_e32 v4, s9
	s_waitcnt vmcnt(0)
	global_atomic_cmpswap_x2 v[3:4], v9, v[3:6], s[6:7] offset:32 glc
	s_waitcnt vmcnt(0)
	v_cmp_eq_u64_e32 vcc, v[3:4], v[5:6]
	v_mov_b32_e32 v6, v4
	s_or_b64 s[14:15], vcc, s[14:15]
	v_mov_b32_e32 v5, v3
	s_andn2_b64 exec, exec, s[14:15]
	s_cbranch_execnz .LBB4_12
.LBB4_13:
	s_or_b64 exec, exec, s[12:13]
	v_mov_b32_e32 v6, 0
	global_load_dwordx2 v[3:4], v6, s[6:7] offset:16
	s_mov_b64 s[12:13], exec
	v_mbcnt_lo_u32_b32 v5, s12, 0
	v_mbcnt_hi_u32_b32 v5, s13, v5
	v_cmp_eq_u32_e32 vcc, 0, v5
	s_and_saveexec_b64 s[14:15], vcc
	s_cbranch_execz .LBB4_15
; %bb.14:
	s_bcnt1_i32_b64 s12, s[12:13]
	v_mov_b32_e32 v5, s12
	s_waitcnt vmcnt(0)
	global_atomic_add_x2 v[3:4], v[5:6], off offset:8
.LBB4_15:
	s_or_b64 exec, exec, s[14:15]
	s_waitcnt vmcnt(0)
	global_load_dwordx2 v[5:6], v[3:4], off offset:16
	s_waitcnt vmcnt(0)
	v_cmp_eq_u64_e32 vcc, 0, v[5:6]
	s_cbranch_vccnz .LBB4_17
; %bb.16:
	global_load_dword v3, v[3:4], off offset:24
	v_mov_b32_e32 v4, 0
	s_waitcnt vmcnt(0)
	v_readfirstlane_b32 s12, v3
	s_and_b32 m0, s12, 0xffffff
	global_store_dwordx2 v[5:6], v[3:4], off
	s_sendmsg sendmsg(MSG_INTERRUPT)
.LBB4_17:
	s_or_b64 exec, exec, s[10:11]
	s_branch .LBB4_21
.LBB4_18:                               ;   in Loop: Header=BB4_21 Depth=1
	s_or_b64 exec, exec, s[10:11]
	v_readfirstlane_b32 s10, v3
	s_cmp_eq_u32 s10, 0
	s_cbranch_scc1 .LBB4_20
; %bb.19:                               ;   in Loop: Header=BB4_21 Depth=1
	s_sleep 1
	s_cbranch_execnz .LBB4_21
	s_branch .LBB4_23
.LBB4_20:
	s_branch .LBB4_23
.LBB4_21:                               ; =>This Inner Loop Header: Depth=1
	v_mov_b32_e32 v3, 1
	s_and_saveexec_b64 s[10:11], s[0:1]
	s_cbranch_execz .LBB4_18
; %bb.22:                               ;   in Loop: Header=BB4_21 Depth=1
	global_load_dword v3, v[0:1], off offset:20 glc
	s_waitcnt vmcnt(0)
	buffer_wbinvl1_vol
	v_and_b32_e32 v3, 1, v3
	s_branch .LBB4_18
.LBB4_23:
	global_load_dwordx2 v[3:4], v[10:11], off
	s_and_saveexec_b64 s[10:11], s[0:1]
	s_cbranch_execz .LBB4_26
; %bb.24:
	v_mov_b32_e32 v9, 0
	global_load_dwordx2 v[0:1], v9, s[6:7] offset:40
	global_load_dwordx2 v[12:13], v9, s[6:7] offset:24 glc
	global_load_dwordx2 v[5:6], v9, s[6:7]
	s_waitcnt vmcnt(2)
	v_readfirstlane_b32 s12, v0
	v_readfirstlane_b32 s13, v1
	s_add_u32 s14, s12, 1
	s_addc_u32 s15, s13, 0
	s_add_u32 s0, s14, s8
	s_addc_u32 s1, s15, s9
	s_cmp_eq_u64 s[0:1], 0
	s_cselect_b32 s1, s15, s1
	s_cselect_b32 s0, s14, s0
	s_and_b64 s[8:9], s[0:1], s[12:13]
	s_mul_i32 s9, s9, 24
	s_mul_hi_u32 s12, s8, 24
	s_mul_i32 s8, s8, 24
	s_add_i32 s9, s12, s9
	v_mov_b32_e32 v1, s9
	s_waitcnt vmcnt(0)
	v_add_co_u32_e32 v0, vcc, s8, v5
	v_addc_co_u32_e32 v1, vcc, v6, v1, vcc
	v_mov_b32_e32 v10, s0
	global_store_dwordx2 v[0:1], v[12:13], off
	v_mov_b32_e32 v11, s1
	s_waitcnt vmcnt(0)
	global_atomic_cmpswap_x2 v[7:8], v9, v[10:13], s[6:7] offset:24 glc
	s_mov_b64 s[8:9], 0
	s_waitcnt vmcnt(0)
	v_cmp_ne_u64_e32 vcc, v[7:8], v[12:13]
	s_and_b64 exec, exec, vcc
	s_cbranch_execz .LBB4_26
.LBB4_25:                               ; =>This Inner Loop Header: Depth=1
	s_sleep 1
	global_store_dwordx2 v[0:1], v[7:8], off
	v_mov_b32_e32 v5, s0
	v_mov_b32_e32 v6, s1
	s_waitcnt vmcnt(0)
	global_atomic_cmpswap_x2 v[5:6], v9, v[5:8], s[6:7] offset:24 glc
	s_waitcnt vmcnt(0)
	v_cmp_eq_u64_e32 vcc, v[5:6], v[7:8]
	v_mov_b32_e32 v8, v6
	s_or_b64 s[8:9], vcc, s[8:9]
	v_mov_b32_e32 v7, v5
	s_andn2_b64 exec, exec, s[8:9]
	s_cbranch_execnz .LBB4_25
.LBB4_26:
	s_or_b64 exec, exec, s[10:11]
	s_getpc_b64 s[8:9]
	s_add_u32 s8, s8, .str.3@rel32@lo+4
	s_addc_u32 s9, s9, .str.3@rel32@hi+12
	s_cmp_lg_u64 s[8:9], 0
	s_cbranch_scc0 .LBB4_112
; %bb.27:
	s_waitcnt vmcnt(0)
	v_and_b32_e32 v9, -3, v3
	v_mov_b32_e32 v10, v4
	s_mov_b64 s[10:11], 0x50
	v_mov_b32_e32 v1, 0
	v_mov_b32_e32 v7, 2
	;; [unrolled: 1-line block ×3, first 2 shown]
	s_branch .LBB4_29
.LBB4_28:                               ;   in Loop: Header=BB4_29 Depth=1
	s_or_b64 exec, exec, s[16:17]
	s_sub_u32 s10, s10, s12
	s_subb_u32 s11, s11, s13
	s_add_u32 s8, s8, s12
	s_addc_u32 s9, s9, s13
	s_cmp_lg_u64 s[10:11], 0
	s_cbranch_scc0 .LBB4_111
.LBB4_29:                               ; =>This Loop Header: Depth=1
                                        ;     Child Loop BB4_32 Depth 2
                                        ;     Child Loop BB4_40 Depth 2
                                        ;     Child Loop BB4_48 Depth 2
                                        ;     Child Loop BB4_56 Depth 2
                                        ;     Child Loop BB4_64 Depth 2
                                        ;     Child Loop BB4_72 Depth 2
                                        ;     Child Loop BB4_80 Depth 2
                                        ;     Child Loop BB4_88 Depth 2
                                        ;     Child Loop BB4_96 Depth 2
                                        ;     Child Loop BB4_105 Depth 2
                                        ;     Child Loop BB4_110 Depth 2
	v_cmp_lt_u64_e64 s[0:1], s[10:11], 56
	v_cmp_gt_u64_e64 s[14:15], s[10:11], 7
	s_and_b64 s[0:1], s[0:1], exec
	s_cselect_b32 s13, s11, 0
	s_cselect_b32 s12, s10, 56
	s_add_u32 s0, s8, 8
	s_addc_u32 s1, s9, 0
	s_and_b64 vcc, exec, s[14:15]
	s_cbranch_vccnz .LBB4_33
; %bb.30:                               ;   in Loop: Header=BB4_29 Depth=1
	s_cmp_eq_u64 s[10:11], 0
	s_cbranch_scc1 .LBB4_34
; %bb.31:                               ;   in Loop: Header=BB4_29 Depth=1
	s_waitcnt vmcnt(0)
	v_mov_b32_e32 v11, 0
	s_lshl_b64 s[0:1], s[12:13], 3
	s_mov_b64 s[14:15], 0
	v_mov_b32_e32 v12, 0
	s_mov_b64 s[16:17], s[8:9]
.LBB4_32:                               ;   Parent Loop BB4_29 Depth=1
                                        ; =>  This Inner Loop Header: Depth=2
	global_load_ubyte v0, v1, s[16:17]
	s_waitcnt vmcnt(0)
	v_and_b32_e32 v0, 0xffff, v0
	v_lshlrev_b64 v[5:6], s14, v[0:1]
	s_add_u32 s14, s14, 8
	s_addc_u32 s15, s15, 0
	s_add_u32 s16, s16, 1
	s_addc_u32 s17, s17, 0
	v_or_b32_e32 v11, v5, v11
	s_cmp_lg_u32 s0, s14
	v_or_b32_e32 v12, v6, v12
	s_cbranch_scc1 .LBB4_32
	s_branch .LBB4_35
.LBB4_33:                               ;   in Loop: Header=BB4_29 Depth=1
	s_mov_b32 s18, 0
	s_branch .LBB4_36
.LBB4_34:                               ;   in Loop: Header=BB4_29 Depth=1
	s_waitcnt vmcnt(0)
	v_mov_b32_e32 v11, 0
	v_mov_b32_e32 v12, 0
.LBB4_35:                               ;   in Loop: Header=BB4_29 Depth=1
	s_mov_b64 s[0:1], s[8:9]
	s_mov_b32 s18, 0
	s_cbranch_execnz .LBB4_37
.LBB4_36:                               ;   in Loop: Header=BB4_29 Depth=1
	global_load_dwordx2 v[11:12], v1, s[8:9]
	s_add_i32 s18, s12, -8
.LBB4_37:                               ;   in Loop: Header=BB4_29 Depth=1
	s_add_u32 s14, s0, 8
	s_addc_u32 s15, s1, 0
	s_cmp_gt_u32 s18, 7
	s_cbranch_scc1 .LBB4_41
; %bb.38:                               ;   in Loop: Header=BB4_29 Depth=1
	s_cmp_eq_u32 s18, 0
	s_cbranch_scc1 .LBB4_42
; %bb.39:                               ;   in Loop: Header=BB4_29 Depth=1
	v_mov_b32_e32 v13, 0
	s_mov_b64 s[14:15], 0
	v_mov_b32_e32 v14, 0
	s_mov_b64 s[16:17], 0
.LBB4_40:                               ;   Parent Loop BB4_29 Depth=1
                                        ; =>  This Inner Loop Header: Depth=2
	s_add_u32 s20, s0, s16
	s_addc_u32 s21, s1, s17
	global_load_ubyte v0, v1, s[20:21]
	s_add_u32 s16, s16, 1
	s_addc_u32 s17, s17, 0
	s_waitcnt vmcnt(0)
	v_and_b32_e32 v0, 0xffff, v0
	v_lshlrev_b64 v[5:6], s14, v[0:1]
	s_add_u32 s14, s14, 8
	s_addc_u32 s15, s15, 0
	v_or_b32_e32 v13, v5, v13
	s_cmp_lg_u32 s18, s16
	v_or_b32_e32 v14, v6, v14
	s_cbranch_scc1 .LBB4_40
	s_branch .LBB4_43
.LBB4_41:                               ;   in Loop: Header=BB4_29 Depth=1
                                        ; implicit-def: $vgpr13_vgpr14
	s_mov_b32 s19, 0
	s_branch .LBB4_44
.LBB4_42:                               ;   in Loop: Header=BB4_29 Depth=1
	v_mov_b32_e32 v13, 0
	v_mov_b32_e32 v14, 0
.LBB4_43:                               ;   in Loop: Header=BB4_29 Depth=1
	s_mov_b64 s[14:15], s[0:1]
	s_mov_b32 s19, 0
	s_cbranch_execnz .LBB4_45
.LBB4_44:                               ;   in Loop: Header=BB4_29 Depth=1
	global_load_dwordx2 v[13:14], v1, s[0:1]
	s_add_i32 s19, s18, -8
.LBB4_45:                               ;   in Loop: Header=BB4_29 Depth=1
	s_add_u32 s0, s14, 8
	s_addc_u32 s1, s15, 0
	s_cmp_gt_u32 s19, 7
	s_cbranch_scc1 .LBB4_49
; %bb.46:                               ;   in Loop: Header=BB4_29 Depth=1
	s_cmp_eq_u32 s19, 0
	s_cbranch_scc1 .LBB4_50
; %bb.47:                               ;   in Loop: Header=BB4_29 Depth=1
	v_mov_b32_e32 v15, 0
	s_mov_b64 s[0:1], 0
	v_mov_b32_e32 v16, 0
	s_mov_b64 s[16:17], 0
.LBB4_48:                               ;   Parent Loop BB4_29 Depth=1
                                        ; =>  This Inner Loop Header: Depth=2
	s_add_u32 s20, s14, s16
	s_addc_u32 s21, s15, s17
	global_load_ubyte v0, v1, s[20:21]
	s_add_u32 s16, s16, 1
	s_addc_u32 s17, s17, 0
	s_waitcnt vmcnt(0)
	v_and_b32_e32 v0, 0xffff, v0
	v_lshlrev_b64 v[5:6], s0, v[0:1]
	s_add_u32 s0, s0, 8
	s_addc_u32 s1, s1, 0
	v_or_b32_e32 v15, v5, v15
	s_cmp_lg_u32 s19, s16
	v_or_b32_e32 v16, v6, v16
	s_cbranch_scc1 .LBB4_48
	s_branch .LBB4_51
.LBB4_49:                               ;   in Loop: Header=BB4_29 Depth=1
	s_mov_b32 s18, 0
	s_branch .LBB4_52
.LBB4_50:                               ;   in Loop: Header=BB4_29 Depth=1
	v_mov_b32_e32 v15, 0
	v_mov_b32_e32 v16, 0
.LBB4_51:                               ;   in Loop: Header=BB4_29 Depth=1
	s_mov_b64 s[0:1], s[14:15]
	s_mov_b32 s18, 0
	s_cbranch_execnz .LBB4_53
.LBB4_52:                               ;   in Loop: Header=BB4_29 Depth=1
	global_load_dwordx2 v[15:16], v1, s[14:15]
	s_add_i32 s18, s19, -8
.LBB4_53:                               ;   in Loop: Header=BB4_29 Depth=1
	s_add_u32 s14, s0, 8
	s_addc_u32 s15, s1, 0
	s_cmp_gt_u32 s18, 7
	s_cbranch_scc1 .LBB4_57
; %bb.54:                               ;   in Loop: Header=BB4_29 Depth=1
	s_cmp_eq_u32 s18, 0
	s_cbranch_scc1 .LBB4_58
; %bb.55:                               ;   in Loop: Header=BB4_29 Depth=1
	v_mov_b32_e32 v17, 0
	s_mov_b64 s[14:15], 0
	v_mov_b32_e32 v18, 0
	s_mov_b64 s[16:17], 0
.LBB4_56:                               ;   Parent Loop BB4_29 Depth=1
                                        ; =>  This Inner Loop Header: Depth=2
	s_add_u32 s20, s0, s16
	s_addc_u32 s21, s1, s17
	global_load_ubyte v0, v1, s[20:21]
	s_add_u32 s16, s16, 1
	s_addc_u32 s17, s17, 0
	s_waitcnt vmcnt(0)
	v_and_b32_e32 v0, 0xffff, v0
	v_lshlrev_b64 v[5:6], s14, v[0:1]
	s_add_u32 s14, s14, 8
	s_addc_u32 s15, s15, 0
	v_or_b32_e32 v17, v5, v17
	s_cmp_lg_u32 s18, s16
	v_or_b32_e32 v18, v6, v18
	s_cbranch_scc1 .LBB4_56
	s_branch .LBB4_59
.LBB4_57:                               ;   in Loop: Header=BB4_29 Depth=1
                                        ; implicit-def: $vgpr17_vgpr18
	s_mov_b32 s19, 0
	s_branch .LBB4_60
.LBB4_58:                               ;   in Loop: Header=BB4_29 Depth=1
	v_mov_b32_e32 v17, 0
	v_mov_b32_e32 v18, 0
.LBB4_59:                               ;   in Loop: Header=BB4_29 Depth=1
	s_mov_b64 s[14:15], s[0:1]
	s_mov_b32 s19, 0
	s_cbranch_execnz .LBB4_61
.LBB4_60:                               ;   in Loop: Header=BB4_29 Depth=1
	global_load_dwordx2 v[17:18], v1, s[0:1]
	s_add_i32 s19, s18, -8
.LBB4_61:                               ;   in Loop: Header=BB4_29 Depth=1
	s_add_u32 s0, s14, 8
	s_addc_u32 s1, s15, 0
	s_cmp_gt_u32 s19, 7
	s_cbranch_scc1 .LBB4_65
; %bb.62:                               ;   in Loop: Header=BB4_29 Depth=1
	s_cmp_eq_u32 s19, 0
	s_cbranch_scc1 .LBB4_66
; %bb.63:                               ;   in Loop: Header=BB4_29 Depth=1
	v_mov_b32_e32 v19, 0
	s_mov_b64 s[0:1], 0
	v_mov_b32_e32 v20, 0
	s_mov_b64 s[16:17], 0
.LBB4_64:                               ;   Parent Loop BB4_29 Depth=1
                                        ; =>  This Inner Loop Header: Depth=2
	s_add_u32 s20, s14, s16
	s_addc_u32 s21, s15, s17
	global_load_ubyte v0, v1, s[20:21]
	s_add_u32 s16, s16, 1
	s_addc_u32 s17, s17, 0
	s_waitcnt vmcnt(0)
	v_and_b32_e32 v0, 0xffff, v0
	v_lshlrev_b64 v[5:6], s0, v[0:1]
	s_add_u32 s0, s0, 8
	s_addc_u32 s1, s1, 0
	v_or_b32_e32 v19, v5, v19
	s_cmp_lg_u32 s19, s16
	v_or_b32_e32 v20, v6, v20
	s_cbranch_scc1 .LBB4_64
	s_branch .LBB4_67
.LBB4_65:                               ;   in Loop: Header=BB4_29 Depth=1
	s_mov_b32 s18, 0
	s_branch .LBB4_68
.LBB4_66:                               ;   in Loop: Header=BB4_29 Depth=1
	v_mov_b32_e32 v19, 0
	v_mov_b32_e32 v20, 0
.LBB4_67:                               ;   in Loop: Header=BB4_29 Depth=1
	s_mov_b64 s[0:1], s[14:15]
	s_mov_b32 s18, 0
	s_cbranch_execnz .LBB4_69
.LBB4_68:                               ;   in Loop: Header=BB4_29 Depth=1
	global_load_dwordx2 v[19:20], v1, s[14:15]
	s_add_i32 s18, s19, -8
.LBB4_69:                               ;   in Loop: Header=BB4_29 Depth=1
	s_add_u32 s14, s0, 8
	s_addc_u32 s15, s1, 0
	s_cmp_gt_u32 s18, 7
	s_cbranch_scc1 .LBB4_73
; %bb.70:                               ;   in Loop: Header=BB4_29 Depth=1
	s_cmp_eq_u32 s18, 0
	s_cbranch_scc1 .LBB4_74
; %bb.71:                               ;   in Loop: Header=BB4_29 Depth=1
	v_mov_b32_e32 v21, 0
	s_mov_b64 s[14:15], 0
	v_mov_b32_e32 v22, 0
	s_mov_b64 s[16:17], 0
.LBB4_72:                               ;   Parent Loop BB4_29 Depth=1
                                        ; =>  This Inner Loop Header: Depth=2
	s_add_u32 s20, s0, s16
	s_addc_u32 s21, s1, s17
	global_load_ubyte v0, v1, s[20:21]
	s_add_u32 s16, s16, 1
	s_addc_u32 s17, s17, 0
	s_waitcnt vmcnt(0)
	v_and_b32_e32 v0, 0xffff, v0
	v_lshlrev_b64 v[5:6], s14, v[0:1]
	s_add_u32 s14, s14, 8
	s_addc_u32 s15, s15, 0
	v_or_b32_e32 v21, v5, v21
	s_cmp_lg_u32 s18, s16
	v_or_b32_e32 v22, v6, v22
	s_cbranch_scc1 .LBB4_72
	s_branch .LBB4_75
.LBB4_73:                               ;   in Loop: Header=BB4_29 Depth=1
                                        ; implicit-def: $vgpr21_vgpr22
	s_mov_b32 s19, 0
	s_branch .LBB4_76
.LBB4_74:                               ;   in Loop: Header=BB4_29 Depth=1
	v_mov_b32_e32 v21, 0
	v_mov_b32_e32 v22, 0
.LBB4_75:                               ;   in Loop: Header=BB4_29 Depth=1
	s_mov_b64 s[14:15], s[0:1]
	s_mov_b32 s19, 0
	s_cbranch_execnz .LBB4_77
.LBB4_76:                               ;   in Loop: Header=BB4_29 Depth=1
	global_load_dwordx2 v[21:22], v1, s[0:1]
	s_add_i32 s19, s18, -8
.LBB4_77:                               ;   in Loop: Header=BB4_29 Depth=1
	s_cmp_gt_u32 s19, 7
	s_cbranch_scc1 .LBB4_81
; %bb.78:                               ;   in Loop: Header=BB4_29 Depth=1
	s_cmp_eq_u32 s19, 0
	s_cbranch_scc1 .LBB4_82
; %bb.79:                               ;   in Loop: Header=BB4_29 Depth=1
	v_mov_b32_e32 v23, 0
	s_mov_b64 s[0:1], 0
	v_mov_b32_e32 v24, 0
	s_mov_b64 s[16:17], s[14:15]
.LBB4_80:                               ;   Parent Loop BB4_29 Depth=1
                                        ; =>  This Inner Loop Header: Depth=2
	global_load_ubyte v0, v1, s[16:17]
	s_add_i32 s19, s19, -1
	s_waitcnt vmcnt(0)
	v_and_b32_e32 v0, 0xffff, v0
	v_lshlrev_b64 v[5:6], s0, v[0:1]
	s_add_u32 s0, s0, 8
	s_addc_u32 s1, s1, 0
	s_add_u32 s16, s16, 1
	s_addc_u32 s17, s17, 0
	v_or_b32_e32 v23, v5, v23
	s_cmp_lg_u32 s19, 0
	v_or_b32_e32 v24, v6, v24
	s_cbranch_scc1 .LBB4_80
	s_branch .LBB4_83
.LBB4_81:                               ;   in Loop: Header=BB4_29 Depth=1
	s_branch .LBB4_84
.LBB4_82:                               ;   in Loop: Header=BB4_29 Depth=1
	v_mov_b32_e32 v23, 0
	v_mov_b32_e32 v24, 0
.LBB4_83:                               ;   in Loop: Header=BB4_29 Depth=1
	s_cbranch_execnz .LBB4_85
.LBB4_84:                               ;   in Loop: Header=BB4_29 Depth=1
	global_load_dwordx2 v[23:24], v1, s[14:15]
.LBB4_85:                               ;   in Loop: Header=BB4_29 Depth=1
	v_readfirstlane_b32 s0, v32
	v_mov_b32_e32 v5, 0
	v_mov_b32_e32 v6, 0
	v_cmp_eq_u32_e64 s[0:1], s0, v32
	s_and_saveexec_b64 s[14:15], s[0:1]
	s_cbranch_execz .LBB4_91
; %bb.86:                               ;   in Loop: Header=BB4_29 Depth=1
	global_load_dwordx2 v[27:28], v1, s[6:7] offset:24 glc
	s_waitcnt vmcnt(0)
	buffer_wbinvl1_vol
	global_load_dwordx2 v[5:6], v1, s[6:7] offset:40
	global_load_dwordx2 v[25:26], v1, s[6:7]
	s_waitcnt vmcnt(1)
	v_and_b32_e32 v0, v5, v27
	v_and_b32_e32 v5, v6, v28
	v_mul_lo_u32 v5, v5, 24
	v_mul_hi_u32 v6, v0, 24
	v_mul_lo_u32 v0, v0, 24
	v_add_u32_e32 v6, v6, v5
	s_waitcnt vmcnt(0)
	v_add_co_u32_e32 v5, vcc, v25, v0
	v_addc_co_u32_e32 v6, vcc, v26, v6, vcc
	global_load_dwordx2 v[25:26], v[5:6], off glc
	s_waitcnt vmcnt(0)
	global_atomic_cmpswap_x2 v[5:6], v1, v[25:28], s[6:7] offset:24 glc
	s_waitcnt vmcnt(0)
	buffer_wbinvl1_vol
	v_cmp_ne_u64_e32 vcc, v[5:6], v[27:28]
	s_and_saveexec_b64 s[16:17], vcc
	s_cbranch_execz .LBB4_90
; %bb.87:                               ;   in Loop: Header=BB4_29 Depth=1
	s_mov_b64 s[18:19], 0
.LBB4_88:                               ;   Parent Loop BB4_29 Depth=1
                                        ; =>  This Inner Loop Header: Depth=2
	s_sleep 1
	global_load_dwordx2 v[25:26], v1, s[6:7] offset:40
	global_load_dwordx2 v[29:30], v1, s[6:7]
	v_mov_b32_e32 v28, v6
	v_mov_b32_e32 v27, v5
	s_waitcnt vmcnt(1)
	v_and_b32_e32 v0, v25, v27
	s_waitcnt vmcnt(0)
	v_mad_u64_u32 v[5:6], s[20:21], v0, 24, v[29:30]
	v_and_b32_e32 v25, v26, v28
	v_mov_b32_e32 v0, v6
	v_mad_u64_u32 v[25:26], s[20:21], v25, 24, v[0:1]
	v_mov_b32_e32 v6, v25
	global_load_dwordx2 v[25:26], v[5:6], off glc
	s_waitcnt vmcnt(0)
	global_atomic_cmpswap_x2 v[5:6], v1, v[25:28], s[6:7] offset:24 glc
	s_waitcnt vmcnt(0)
	buffer_wbinvl1_vol
	v_cmp_eq_u64_e32 vcc, v[5:6], v[27:28]
	s_or_b64 s[18:19], vcc, s[18:19]
	s_andn2_b64 exec, exec, s[18:19]
	s_cbranch_execnz .LBB4_88
; %bb.89:                               ;   in Loop: Header=BB4_29 Depth=1
	s_or_b64 exec, exec, s[18:19]
.LBB4_90:                               ;   in Loop: Header=BB4_29 Depth=1
	s_or_b64 exec, exec, s[16:17]
.LBB4_91:                               ;   in Loop: Header=BB4_29 Depth=1
	s_or_b64 exec, exec, s[14:15]
	global_load_dwordx2 v[29:30], v1, s[6:7] offset:40
	global_load_dwordx4 v[25:28], v1, s[6:7]
	v_readfirstlane_b32 s15, v6
	v_readfirstlane_b32 s14, v5
	s_mov_b64 s[16:17], exec
	s_waitcnt vmcnt(1)
	v_readfirstlane_b32 s18, v29
	v_readfirstlane_b32 s19, v30
	s_and_b64 s[18:19], s[18:19], s[14:15]
	s_mul_i32 s20, s19, 24
	s_mul_hi_u32 s21, s18, 24
	s_mul_i32 s22, s18, 24
	s_add_i32 s20, s21, s20
	v_mov_b32_e32 v0, s20
	s_waitcnt vmcnt(0)
	v_add_co_u32_e32 v29, vcc, s22, v25
	v_addc_co_u32_e32 v30, vcc, v26, v0, vcc
	s_and_saveexec_b64 s[20:21], s[0:1]
	s_cbranch_execz .LBB4_93
; %bb.92:                               ;   in Loop: Header=BB4_29 Depth=1
	v_mov_b32_e32 v5, s16
	v_mov_b32_e32 v6, s17
	global_store_dwordx4 v[29:30], v[5:8], off offset:8
.LBB4_93:                               ;   in Loop: Header=BB4_29 Depth=1
	s_or_b64 exec, exec, s[20:21]
	s_lshl_b64 s[16:17], s[18:19], 12
	v_cmp_gt_u64_e64 s[18:19], s[10:11], 56
	v_mov_b32_e32 v0, s17
	v_add_co_u32_e32 v27, vcc, s16, v27
	s_and_b64 s[16:17], s[18:19], exec
	s_cselect_b32 s16, 0, 2
	s_lshl_b32 s17, s12, 2
	v_addc_co_u32_e32 v28, vcc, v28, v0, vcc
	s_add_i32 s17, s17, 28
	v_and_b32_e32 v0, 0xffffff1f, v9
	s_and_b32 s17, s17, 0x1e0
	v_or_b32_e32 v0, s16, v0
	v_or_b32_e32 v9, s17, v0
	v_readfirstlane_b32 s16, v27
	v_readfirstlane_b32 s17, v28
	s_nop 4
	global_store_dwordx4 v31, v[9:12], s[16:17]
	global_store_dwordx4 v31, v[13:16], s[16:17] offset:16
	global_store_dwordx4 v31, v[17:20], s[16:17] offset:32
	;; [unrolled: 1-line block ×3, first 2 shown]
	s_and_saveexec_b64 s[16:17], s[0:1]
	s_cbranch_execz .LBB4_101
; %bb.94:                               ;   in Loop: Header=BB4_29 Depth=1
	global_load_dwordx2 v[13:14], v1, s[6:7] offset:32 glc
	global_load_dwordx2 v[5:6], v1, s[6:7] offset:40
	v_mov_b32_e32 v11, s14
	v_mov_b32_e32 v12, s15
	s_waitcnt vmcnt(0)
	v_readfirstlane_b32 s18, v5
	v_readfirstlane_b32 s19, v6
	s_and_b64 s[18:19], s[18:19], s[14:15]
	s_mul_i32 s19, s19, 24
	s_mul_hi_u32 s20, s18, 24
	s_mul_i32 s18, s18, 24
	s_add_i32 s19, s20, s19
	v_mov_b32_e32 v0, s19
	v_add_co_u32_e32 v5, vcc, s18, v25
	v_addc_co_u32_e32 v6, vcc, v26, v0, vcc
	global_store_dwordx2 v[5:6], v[13:14], off
	s_waitcnt vmcnt(0)
	global_atomic_cmpswap_x2 v[11:12], v1, v[11:14], s[6:7] offset:32 glc
	s_waitcnt vmcnt(0)
	v_cmp_ne_u64_e32 vcc, v[11:12], v[13:14]
	s_and_saveexec_b64 s[18:19], vcc
	s_cbranch_execz .LBB4_97
; %bb.95:                               ;   in Loop: Header=BB4_29 Depth=1
	s_mov_b64 s[20:21], 0
.LBB4_96:                               ;   Parent Loop BB4_29 Depth=1
                                        ; =>  This Inner Loop Header: Depth=2
	s_sleep 1
	global_store_dwordx2 v[5:6], v[11:12], off
	v_mov_b32_e32 v9, s14
	v_mov_b32_e32 v10, s15
	s_waitcnt vmcnt(0)
	global_atomic_cmpswap_x2 v[9:10], v1, v[9:12], s[6:7] offset:32 glc
	s_waitcnt vmcnt(0)
	v_cmp_eq_u64_e32 vcc, v[9:10], v[11:12]
	v_mov_b32_e32 v12, v10
	s_or_b64 s[20:21], vcc, s[20:21]
	v_mov_b32_e32 v11, v9
	s_andn2_b64 exec, exec, s[20:21]
	s_cbranch_execnz .LBB4_96
.LBB4_97:                               ;   in Loop: Header=BB4_29 Depth=1
	s_or_b64 exec, exec, s[18:19]
	global_load_dwordx2 v[5:6], v1, s[6:7] offset:16
	s_mov_b64 s[20:21], exec
	v_mbcnt_lo_u32_b32 v0, s20, 0
	v_mbcnt_hi_u32_b32 v0, s21, v0
	v_cmp_eq_u32_e32 vcc, 0, v0
	s_and_saveexec_b64 s[18:19], vcc
	s_cbranch_execz .LBB4_99
; %bb.98:                               ;   in Loop: Header=BB4_29 Depth=1
	s_bcnt1_i32_b64 s20, s[20:21]
	v_mov_b32_e32 v0, s20
	s_waitcnt vmcnt(0)
	global_atomic_add_x2 v[5:6], v[0:1], off offset:8
.LBB4_99:                               ;   in Loop: Header=BB4_29 Depth=1
	s_or_b64 exec, exec, s[18:19]
	s_waitcnt vmcnt(0)
	global_load_dwordx2 v[9:10], v[5:6], off offset:16
	s_waitcnt vmcnt(0)
	v_cmp_eq_u64_e32 vcc, 0, v[9:10]
	s_cbranch_vccnz .LBB4_101
; %bb.100:                              ;   in Loop: Header=BB4_29 Depth=1
	global_load_dword v0, v[5:6], off offset:24
	s_waitcnt vmcnt(0)
	v_readfirstlane_b32 s18, v0
	s_and_b32 m0, s18, 0xffffff
	global_store_dwordx2 v[9:10], v[0:1], off
	s_sendmsg sendmsg(MSG_INTERRUPT)
.LBB4_101:                              ;   in Loop: Header=BB4_29 Depth=1
	s_or_b64 exec, exec, s[16:17]
	v_add_co_u32_e32 v5, vcc, v27, v31
	v_addc_co_u32_e32 v6, vcc, 0, v28, vcc
	s_branch .LBB4_105
.LBB4_102:                              ;   in Loop: Header=BB4_105 Depth=2
	s_or_b64 exec, exec, s[16:17]
	v_readfirstlane_b32 s16, v0
	s_cmp_eq_u32 s16, 0
	s_cbranch_scc1 .LBB4_104
; %bb.103:                              ;   in Loop: Header=BB4_105 Depth=2
	s_sleep 1
	s_cbranch_execnz .LBB4_105
	s_branch .LBB4_107
.LBB4_104:                              ;   in Loop: Header=BB4_29 Depth=1
	s_branch .LBB4_107
.LBB4_105:                              ;   Parent Loop BB4_29 Depth=1
                                        ; =>  This Inner Loop Header: Depth=2
	v_mov_b32_e32 v0, 1
	s_and_saveexec_b64 s[16:17], s[0:1]
	s_cbranch_execz .LBB4_102
; %bb.106:                              ;   in Loop: Header=BB4_105 Depth=2
	global_load_dword v0, v[29:30], off offset:20 glc
	s_waitcnt vmcnt(0)
	buffer_wbinvl1_vol
	v_and_b32_e32 v0, 1, v0
	s_branch .LBB4_102
.LBB4_107:                              ;   in Loop: Header=BB4_29 Depth=1
	global_load_dwordx4 v[9:12], v[5:6], off
	s_and_saveexec_b64 s[16:17], s[0:1]
	s_cbranch_execz .LBB4_28
; %bb.108:                              ;   in Loop: Header=BB4_29 Depth=1
	global_load_dwordx2 v[5:6], v1, s[6:7] offset:40
	global_load_dwordx2 v[15:16], v1, s[6:7] offset:24 glc
	global_load_dwordx2 v[11:12], v1, s[6:7]
	s_waitcnt vmcnt(2)
	v_readfirstlane_b32 s18, v5
	v_readfirstlane_b32 s19, v6
	s_add_u32 s20, s18, 1
	s_addc_u32 s21, s19, 0
	s_add_u32 s0, s20, s14
	s_addc_u32 s1, s21, s15
	s_cmp_eq_u64 s[0:1], 0
	s_cselect_b32 s1, s21, s1
	s_cselect_b32 s0, s20, s0
	s_and_b64 s[14:15], s[0:1], s[18:19]
	s_mul_i32 s15, s15, 24
	s_mul_hi_u32 s18, s14, 24
	s_mul_i32 s14, s14, 24
	s_add_i32 s15, s18, s15
	v_mov_b32_e32 v0, s15
	s_waitcnt vmcnt(0)
	v_add_co_u32_e32 v5, vcc, s14, v11
	v_addc_co_u32_e32 v6, vcc, v12, v0, vcc
	v_mov_b32_e32 v13, s0
	global_store_dwordx2 v[5:6], v[15:16], off
	v_mov_b32_e32 v14, s1
	s_waitcnt vmcnt(0)
	global_atomic_cmpswap_x2 v[13:14], v1, v[13:16], s[6:7] offset:24 glc
	s_waitcnt vmcnt(0)
	v_cmp_ne_u64_e32 vcc, v[13:14], v[15:16]
	s_and_b64 exec, exec, vcc
	s_cbranch_execz .LBB4_28
; %bb.109:                              ;   in Loop: Header=BB4_29 Depth=1
	s_mov_b64 s[14:15], 0
.LBB4_110:                              ;   Parent Loop BB4_29 Depth=1
                                        ; =>  This Inner Loop Header: Depth=2
	s_sleep 1
	global_store_dwordx2 v[5:6], v[13:14], off
	v_mov_b32_e32 v11, s0
	v_mov_b32_e32 v12, s1
	s_waitcnt vmcnt(0)
	global_atomic_cmpswap_x2 v[11:12], v1, v[11:14], s[6:7] offset:24 glc
	s_waitcnt vmcnt(0)
	v_cmp_eq_u64_e32 vcc, v[11:12], v[13:14]
	v_mov_b32_e32 v14, v12
	s_or_b64 s[14:15], vcc, s[14:15]
	v_mov_b32_e32 v13, v11
	s_andn2_b64 exec, exec, s[14:15]
	s_cbranch_execnz .LBB4_110
	s_branch .LBB4_28
.LBB4_111:
	s_branch .LBB4_138
.LBB4_112:
	s_cbranch_execz .LBB4_138
; %bb.113:
	v_readfirstlane_b32 s0, v32
	v_mov_b32_e32 v0, 0
	v_mov_b32_e32 v1, 0
	v_cmp_eq_u32_e64 s[0:1], s0, v32
	s_and_saveexec_b64 s[8:9], s[0:1]
	s_cbranch_execz .LBB4_119
; %bb.114:
	v_mov_b32_e32 v5, 0
	global_load_dwordx2 v[8:9], v5, s[6:7] offset:24 glc
	s_waitcnt vmcnt(0)
	buffer_wbinvl1_vol
	global_load_dwordx2 v[0:1], v5, s[6:7] offset:40
	global_load_dwordx2 v[6:7], v5, s[6:7]
	s_waitcnt vmcnt(1)
	v_and_b32_e32 v0, v0, v8
	v_and_b32_e32 v1, v1, v9
	v_mul_lo_u32 v1, v1, 24
	v_mul_hi_u32 v10, v0, 24
	v_mul_lo_u32 v0, v0, 24
	v_add_u32_e32 v1, v10, v1
	s_waitcnt vmcnt(0)
	v_add_co_u32_e32 v0, vcc, v6, v0
	v_addc_co_u32_e32 v1, vcc, v7, v1, vcc
	global_load_dwordx2 v[6:7], v[0:1], off glc
	s_waitcnt vmcnt(0)
	global_atomic_cmpswap_x2 v[0:1], v5, v[6:9], s[6:7] offset:24 glc
	s_waitcnt vmcnt(0)
	buffer_wbinvl1_vol
	v_cmp_ne_u64_e32 vcc, v[0:1], v[8:9]
	s_and_saveexec_b64 s[10:11], vcc
	s_cbranch_execz .LBB4_118
; %bb.115:
	s_mov_b64 s[12:13], 0
.LBB4_116:                              ; =>This Inner Loop Header: Depth=1
	s_sleep 1
	global_load_dwordx2 v[6:7], v5, s[6:7] offset:40
	global_load_dwordx2 v[10:11], v5, s[6:7]
	v_mov_b32_e32 v9, v1
	v_mov_b32_e32 v8, v0
	s_waitcnt vmcnt(1)
	v_and_b32_e32 v0, v6, v8
	s_waitcnt vmcnt(0)
	v_mad_u64_u32 v[0:1], s[14:15], v0, 24, v[10:11]
	v_and_b32_e32 v6, v7, v9
	v_mad_u64_u32 v[6:7], s[14:15], v6, 24, v[1:2]
	v_mov_b32_e32 v1, v6
	global_load_dwordx2 v[6:7], v[0:1], off glc
	s_waitcnt vmcnt(0)
	global_atomic_cmpswap_x2 v[0:1], v5, v[6:9], s[6:7] offset:24 glc
	s_waitcnt vmcnt(0)
	buffer_wbinvl1_vol
	v_cmp_eq_u64_e32 vcc, v[0:1], v[8:9]
	s_or_b64 s[12:13], vcc, s[12:13]
	s_andn2_b64 exec, exec, s[12:13]
	s_cbranch_execnz .LBB4_116
; %bb.117:
	s_or_b64 exec, exec, s[12:13]
.LBB4_118:
	s_or_b64 exec, exec, s[10:11]
.LBB4_119:
	s_or_b64 exec, exec, s[8:9]
	v_mov_b32_e32 v5, 0
	global_load_dwordx2 v[11:12], v5, s[6:7] offset:40
	global_load_dwordx4 v[7:10], v5, s[6:7]
	v_readfirstlane_b32 s9, v1
	v_readfirstlane_b32 s8, v0
	s_mov_b64 s[10:11], exec
	s_waitcnt vmcnt(1)
	v_readfirstlane_b32 s12, v11
	v_readfirstlane_b32 s13, v12
	s_and_b64 s[12:13], s[12:13], s[8:9]
	s_mul_i32 s14, s13, 24
	s_mul_hi_u32 s15, s12, 24
	s_mul_i32 s16, s12, 24
	s_add_i32 s14, s15, s14
	v_mov_b32_e32 v1, s14
	s_waitcnt vmcnt(0)
	v_add_co_u32_e32 v0, vcc, s16, v7
	v_addc_co_u32_e32 v1, vcc, v8, v1, vcc
	s_and_saveexec_b64 s[14:15], s[0:1]
	s_cbranch_execz .LBB4_121
; %bb.120:
	v_mov_b32_e32 v12, s11
	v_mov_b32_e32 v11, s10
	;; [unrolled: 1-line block ×4, first 2 shown]
	global_store_dwordx4 v[0:1], v[11:14], off offset:8
.LBB4_121:
	s_or_b64 exec, exec, s[14:15]
	s_lshl_b64 s[10:11], s[12:13], 12
	v_mov_b32_e32 v6, s11
	v_add_co_u32_e32 v9, vcc, s10, v9
	v_addc_co_u32_e32 v10, vcc, v10, v6, vcc
	s_movk_i32 s10, 0xff1d
	v_and_or_b32 v3, v3, s10, 34
	s_mov_b32 s12, 0
	v_mov_b32_e32 v6, v5
	v_readfirstlane_b32 s10, v9
	v_readfirstlane_b32 s11, v10
	s_mov_b32 s13, s12
	s_mov_b32 s14, s12
	;; [unrolled: 1-line block ×3, first 2 shown]
	s_nop 1
	global_store_dwordx4 v31, v[3:6], s[10:11]
	s_nop 0
	v_mov_b32_e32 v3, s12
	v_mov_b32_e32 v4, s13
	;; [unrolled: 1-line block ×4, first 2 shown]
	global_store_dwordx4 v31, v[3:6], s[10:11] offset:16
	global_store_dwordx4 v31, v[3:6], s[10:11] offset:32
	;; [unrolled: 1-line block ×3, first 2 shown]
	s_and_saveexec_b64 s[10:11], s[0:1]
	s_cbranch_execz .LBB4_129
; %bb.122:
	v_mov_b32_e32 v9, 0
	global_load_dwordx2 v[12:13], v9, s[6:7] offset:32 glc
	global_load_dwordx2 v[3:4], v9, s[6:7] offset:40
	v_mov_b32_e32 v10, s8
	v_mov_b32_e32 v11, s9
	s_waitcnt vmcnt(0)
	v_readfirstlane_b32 s12, v3
	v_readfirstlane_b32 s13, v4
	s_and_b64 s[12:13], s[12:13], s[8:9]
	s_mul_i32 s13, s13, 24
	s_mul_hi_u32 s14, s12, 24
	s_mul_i32 s12, s12, 24
	s_add_i32 s13, s14, s13
	v_mov_b32_e32 v3, s13
	v_add_co_u32_e32 v7, vcc, s12, v7
	v_addc_co_u32_e32 v8, vcc, v8, v3, vcc
	global_store_dwordx2 v[7:8], v[12:13], off
	s_waitcnt vmcnt(0)
	global_atomic_cmpswap_x2 v[5:6], v9, v[10:13], s[6:7] offset:32 glc
	s_waitcnt vmcnt(0)
	v_cmp_ne_u64_e32 vcc, v[5:6], v[12:13]
	s_and_saveexec_b64 s[12:13], vcc
	s_cbranch_execz .LBB4_125
; %bb.123:
	s_mov_b64 s[14:15], 0
.LBB4_124:                              ; =>This Inner Loop Header: Depth=1
	s_sleep 1
	global_store_dwordx2 v[7:8], v[5:6], off
	v_mov_b32_e32 v3, s8
	v_mov_b32_e32 v4, s9
	s_waitcnt vmcnt(0)
	global_atomic_cmpswap_x2 v[3:4], v9, v[3:6], s[6:7] offset:32 glc
	s_waitcnt vmcnt(0)
	v_cmp_eq_u64_e32 vcc, v[3:4], v[5:6]
	v_mov_b32_e32 v6, v4
	s_or_b64 s[14:15], vcc, s[14:15]
	v_mov_b32_e32 v5, v3
	s_andn2_b64 exec, exec, s[14:15]
	s_cbranch_execnz .LBB4_124
.LBB4_125:
	s_or_b64 exec, exec, s[12:13]
	v_mov_b32_e32 v6, 0
	global_load_dwordx2 v[3:4], v6, s[6:7] offset:16
	s_mov_b64 s[12:13], exec
	v_mbcnt_lo_u32_b32 v5, s12, 0
	v_mbcnt_hi_u32_b32 v5, s13, v5
	v_cmp_eq_u32_e32 vcc, 0, v5
	s_and_saveexec_b64 s[14:15], vcc
	s_cbranch_execz .LBB4_127
; %bb.126:
	s_bcnt1_i32_b64 s12, s[12:13]
	v_mov_b32_e32 v5, s12
	s_waitcnt vmcnt(0)
	global_atomic_add_x2 v[3:4], v[5:6], off offset:8
.LBB4_127:
	s_or_b64 exec, exec, s[14:15]
	s_waitcnt vmcnt(0)
	global_load_dwordx2 v[5:6], v[3:4], off offset:16
	s_waitcnt vmcnt(0)
	v_cmp_eq_u64_e32 vcc, 0, v[5:6]
	s_cbranch_vccnz .LBB4_129
; %bb.128:
	global_load_dword v3, v[3:4], off offset:24
	v_mov_b32_e32 v4, 0
	s_waitcnt vmcnt(0)
	v_readfirstlane_b32 s12, v3
	s_and_b32 m0, s12, 0xffffff
	global_store_dwordx2 v[5:6], v[3:4], off
	s_sendmsg sendmsg(MSG_INTERRUPT)
.LBB4_129:
	s_or_b64 exec, exec, s[10:11]
	s_branch .LBB4_133
.LBB4_130:                              ;   in Loop: Header=BB4_133 Depth=1
	s_or_b64 exec, exec, s[10:11]
	v_readfirstlane_b32 s10, v3
	s_cmp_eq_u32 s10, 0
	s_cbranch_scc1 .LBB4_132
; %bb.131:                              ;   in Loop: Header=BB4_133 Depth=1
	s_sleep 1
	s_cbranch_execnz .LBB4_133
	s_branch .LBB4_135
.LBB4_132:
	s_branch .LBB4_135
.LBB4_133:                              ; =>This Inner Loop Header: Depth=1
	v_mov_b32_e32 v3, 1
	s_and_saveexec_b64 s[10:11], s[0:1]
	s_cbranch_execz .LBB4_130
; %bb.134:                              ;   in Loop: Header=BB4_133 Depth=1
	global_load_dword v3, v[0:1], off offset:20 glc
	s_waitcnt vmcnt(0)
	buffer_wbinvl1_vol
	v_and_b32_e32 v3, 1, v3
	s_branch .LBB4_130
.LBB4_135:
	s_and_b64 exec, exec, s[0:1]
	s_cbranch_execz .LBB4_138
; %bb.136:
	v_mov_b32_e32 v7, 0
	global_load_dwordx2 v[0:1], v7, s[6:7] offset:40
	global_load_dwordx2 v[10:11], v7, s[6:7] offset:24 glc
	global_load_dwordx2 v[3:4], v7, s[6:7]
	s_waitcnt vmcnt(2)
	v_readfirstlane_b32 s10, v0
	v_readfirstlane_b32 s11, v1
	s_add_u32 s12, s10, 1
	s_addc_u32 s13, s11, 0
	s_add_u32 s0, s12, s8
	s_addc_u32 s1, s13, s9
	s_cmp_eq_u64 s[0:1], 0
	s_cselect_b32 s1, s13, s1
	s_cselect_b32 s0, s12, s0
	s_and_b64 s[8:9], s[0:1], s[10:11]
	s_mul_i32 s9, s9, 24
	s_mul_hi_u32 s10, s8, 24
	s_mul_i32 s8, s8, 24
	s_add_i32 s9, s10, s9
	v_mov_b32_e32 v1, s9
	s_waitcnt vmcnt(0)
	v_add_co_u32_e32 v0, vcc, s8, v3
	v_addc_co_u32_e32 v1, vcc, v4, v1, vcc
	v_mov_b32_e32 v8, s0
	global_store_dwordx2 v[0:1], v[10:11], off
	v_mov_b32_e32 v9, s1
	s_waitcnt vmcnt(0)
	global_atomic_cmpswap_x2 v[5:6], v7, v[8:11], s[6:7] offset:24 glc
	s_mov_b64 s[8:9], 0
	s_waitcnt vmcnt(0)
	v_cmp_ne_u64_e32 vcc, v[5:6], v[10:11]
	s_and_b64 exec, exec, vcc
	s_cbranch_execz .LBB4_138
.LBB4_137:                              ; =>This Inner Loop Header: Depth=1
	s_sleep 1
	global_store_dwordx2 v[0:1], v[5:6], off
	v_mov_b32_e32 v3, s0
	v_mov_b32_e32 v4, s1
	s_waitcnt vmcnt(0)
	global_atomic_cmpswap_x2 v[3:4], v7, v[3:6], s[6:7] offset:24 glc
	s_waitcnt vmcnt(0)
	v_cmp_eq_u64_e32 vcc, v[3:4], v[5:6]
	v_mov_b32_e32 v6, v4
	s_or_b64 s[8:9], vcc, s[8:9]
	v_mov_b32_e32 v5, v3
	s_andn2_b64 exec, exec, s[8:9]
	s_cbranch_execnz .LBB4_137
.LBB4_138:
	s_or_b64 exec, exec, s[2:3]
	v_and_b32_e32 v0, 1, v2
	v_cmp_eq_u32_e32 vcc, 1, v0
	s_waitcnt vmcnt(0) lgkmcnt(0)
	s_barrier
	s_and_saveexec_b64 s[0:1], vcc
	s_xor_b64 s[2:3], exec, s[0:1]
	s_cbranch_execz .LBB4_329
; %bb.139:
	s_mov_b64 s[10:11], exec
	v_mbcnt_lo_u32_b32 v0, s10, 0
	v_mbcnt_hi_u32_b32 v0, s11, v0
	v_cmp_eq_u32_e32 vcc, 0, v0
	s_and_saveexec_b64 s[6:7], vcc
	s_cbranch_execz .LBB4_328
; %bb.140:
	s_load_dwordx2 s[8:9], s[4:5], 0x50
	v_mbcnt_lo_u32_b32 v0, -1, 0
	v_mbcnt_hi_u32_b32 v32, -1, v0
	v_readfirstlane_b32 s0, v32
	v_mov_b32_e32 v0, 0
	v_mov_b32_e32 v1, 0
	v_cmp_eq_u32_e64 s[0:1], s0, v32
	s_and_saveexec_b64 s[12:13], s[0:1]
	s_cbranch_execz .LBB4_146
; %bb.141:
	v_mov_b32_e32 v3, 0
	s_waitcnt lgkmcnt(0)
	global_load_dwordx2 v[6:7], v3, s[8:9] offset:24 glc
	s_waitcnt vmcnt(0)
	buffer_wbinvl1_vol
	global_load_dwordx2 v[0:1], v3, s[8:9] offset:40
	global_load_dwordx2 v[4:5], v3, s[8:9]
	s_waitcnt vmcnt(1)
	v_and_b32_e32 v0, v0, v6
	v_and_b32_e32 v1, v1, v7
	v_mul_lo_u32 v1, v1, 24
	v_mul_hi_u32 v8, v0, 24
	v_mul_lo_u32 v0, v0, 24
	v_add_u32_e32 v1, v8, v1
	s_waitcnt vmcnt(0)
	v_add_co_u32_e32 v0, vcc, v4, v0
	v_addc_co_u32_e32 v1, vcc, v5, v1, vcc
	global_load_dwordx2 v[4:5], v[0:1], off glc
	s_waitcnt vmcnt(0)
	global_atomic_cmpswap_x2 v[0:1], v3, v[4:7], s[8:9] offset:24 glc
	s_waitcnt vmcnt(0)
	buffer_wbinvl1_vol
	v_cmp_ne_u64_e32 vcc, v[0:1], v[6:7]
	s_and_saveexec_b64 s[14:15], vcc
	s_cbranch_execz .LBB4_145
; %bb.142:
	s_mov_b64 s[16:17], 0
.LBB4_143:                              ; =>This Inner Loop Header: Depth=1
	s_sleep 1
	global_load_dwordx2 v[4:5], v3, s[8:9] offset:40
	global_load_dwordx2 v[8:9], v3, s[8:9]
	v_mov_b32_e32 v7, v1
	v_mov_b32_e32 v6, v0
	s_waitcnt vmcnt(1)
	v_and_b32_e32 v0, v4, v6
	s_waitcnt vmcnt(0)
	v_mad_u64_u32 v[0:1], s[18:19], v0, 24, v[8:9]
	v_and_b32_e32 v4, v5, v7
	v_mad_u64_u32 v[4:5], s[18:19], v4, 24, v[1:2]
	v_mov_b32_e32 v1, v4
	global_load_dwordx2 v[4:5], v[0:1], off glc
	s_waitcnt vmcnt(0)
	global_atomic_cmpswap_x2 v[0:1], v3, v[4:7], s[8:9] offset:24 glc
	s_waitcnt vmcnt(0)
	buffer_wbinvl1_vol
	v_cmp_eq_u64_e32 vcc, v[0:1], v[6:7]
	s_or_b64 s[16:17], vcc, s[16:17]
	s_andn2_b64 exec, exec, s[16:17]
	s_cbranch_execnz .LBB4_143
; %bb.144:
	s_or_b64 exec, exec, s[16:17]
.LBB4_145:
	s_or_b64 exec, exec, s[14:15]
.LBB4_146:
	s_or_b64 exec, exec, s[12:13]
	v_mov_b32_e32 v7, 0
	s_waitcnt lgkmcnt(0)
	global_load_dwordx2 v[8:9], v7, s[8:9] offset:40
	global_load_dwordx4 v[3:6], v7, s[8:9]
	v_readfirstlane_b32 s13, v1
	v_readfirstlane_b32 s12, v0
	s_mov_b64 s[14:15], exec
	s_waitcnt vmcnt(1)
	v_readfirstlane_b32 s16, v8
	v_readfirstlane_b32 s17, v9
	s_and_b64 s[16:17], s[16:17], s[12:13]
	s_mul_i32 s18, s17, 24
	s_mul_hi_u32 s19, s16, 24
	s_mul_i32 s20, s16, 24
	s_add_i32 s18, s19, s18
	v_mov_b32_e32 v1, s18
	s_waitcnt vmcnt(0)
	v_add_co_u32_e32 v0, vcc, s20, v3
	v_addc_co_u32_e32 v1, vcc, v4, v1, vcc
	s_and_saveexec_b64 s[18:19], s[0:1]
	s_cbranch_execz .LBB4_148
; %bb.147:
	v_mov_b32_e32 v8, s14
	v_mov_b32_e32 v9, s15
	;; [unrolled: 1-line block ×4, first 2 shown]
	global_store_dwordx4 v[0:1], v[8:11], off offset:8
.LBB4_148:
	s_or_b64 exec, exec, s[18:19]
	s_lshl_b64 s[14:15], s[16:17], 12
	v_mov_b32_e32 v8, s15
	v_add_co_u32_e32 v5, vcc, s14, v5
	v_addc_co_u32_e32 v12, vcc, v6, v8, vcc
	v_lshlrev_b32_e32 v31, 6, v32
	s_mov_b32 s16, 0
	v_mov_b32_e32 v6, 33
	v_mov_b32_e32 v8, v7
	v_mov_b32_e32 v9, v7
	v_readfirstlane_b32 s14, v5
	v_readfirstlane_b32 s15, v12
	v_add_co_u32_e32 v10, vcc, v5, v31
	s_mov_b32 s17, s16
	s_mov_b32 s18, s16
	;; [unrolled: 1-line block ×3, first 2 shown]
	s_nop 0
	global_store_dwordx4 v31, v[6:9], s[14:15]
	v_mov_b32_e32 v5, s16
	v_addc_co_u32_e32 v11, vcc, 0, v12, vcc
	v_mov_b32_e32 v6, s17
	v_mov_b32_e32 v7, s18
	;; [unrolled: 1-line block ×3, first 2 shown]
	global_store_dwordx4 v31, v[5:8], s[14:15] offset:16
	global_store_dwordx4 v31, v[5:8], s[14:15] offset:32
	;; [unrolled: 1-line block ×3, first 2 shown]
	s_and_saveexec_b64 s[14:15], s[0:1]
	s_cbranch_execz .LBB4_156
; %bb.149:
	v_mov_b32_e32 v9, 0
	global_load_dwordx2 v[14:15], v9, s[8:9] offset:32 glc
	global_load_dwordx2 v[5:6], v9, s[8:9] offset:40
	v_mov_b32_e32 v12, s12
	v_mov_b32_e32 v13, s13
	s_waitcnt vmcnt(0)
	v_and_b32_e32 v5, s12, v5
	v_and_b32_e32 v6, s13, v6
	v_mul_lo_u32 v6, v6, 24
	v_mul_hi_u32 v7, v5, 24
	v_mul_lo_u32 v5, v5, 24
	v_add_u32_e32 v6, v7, v6
	v_add_co_u32_e32 v7, vcc, v3, v5
	v_addc_co_u32_e32 v8, vcc, v4, v6, vcc
	global_store_dwordx2 v[7:8], v[14:15], off
	s_waitcnt vmcnt(0)
	global_atomic_cmpswap_x2 v[5:6], v9, v[12:15], s[8:9] offset:32 glc
	s_waitcnt vmcnt(0)
	v_cmp_ne_u64_e32 vcc, v[5:6], v[14:15]
	s_and_saveexec_b64 s[16:17], vcc
	s_cbranch_execz .LBB4_152
; %bb.150:
	s_mov_b64 s[18:19], 0
.LBB4_151:                              ; =>This Inner Loop Header: Depth=1
	s_sleep 1
	global_store_dwordx2 v[7:8], v[5:6], off
	v_mov_b32_e32 v3, s12
	v_mov_b32_e32 v4, s13
	s_waitcnt vmcnt(0)
	global_atomic_cmpswap_x2 v[3:4], v9, v[3:6], s[8:9] offset:32 glc
	s_waitcnt vmcnt(0)
	v_cmp_eq_u64_e32 vcc, v[3:4], v[5:6]
	v_mov_b32_e32 v6, v4
	s_or_b64 s[18:19], vcc, s[18:19]
	v_mov_b32_e32 v5, v3
	s_andn2_b64 exec, exec, s[18:19]
	s_cbranch_execnz .LBB4_151
.LBB4_152:
	s_or_b64 exec, exec, s[16:17]
	v_mov_b32_e32 v6, 0
	global_load_dwordx2 v[3:4], v6, s[8:9] offset:16
	s_mov_b64 s[16:17], exec
	v_mbcnt_lo_u32_b32 v5, s16, 0
	v_mbcnt_hi_u32_b32 v5, s17, v5
	v_cmp_eq_u32_e32 vcc, 0, v5
	s_and_saveexec_b64 s[18:19], vcc
	s_cbranch_execz .LBB4_154
; %bb.153:
	s_bcnt1_i32_b64 s16, s[16:17]
	v_mov_b32_e32 v5, s16
	s_waitcnt vmcnt(0)
	global_atomic_add_x2 v[3:4], v[5:6], off offset:8
.LBB4_154:
	s_or_b64 exec, exec, s[18:19]
	s_waitcnt vmcnt(0)
	global_load_dwordx2 v[5:6], v[3:4], off offset:16
	s_waitcnt vmcnt(0)
	v_cmp_eq_u64_e32 vcc, 0, v[5:6]
	s_cbranch_vccnz .LBB4_156
; %bb.155:
	global_load_dword v3, v[3:4], off offset:24
	v_mov_b32_e32 v4, 0
	s_waitcnt vmcnt(0)
	v_readfirstlane_b32 s16, v3
	s_and_b32 m0, s16, 0xffffff
	global_store_dwordx2 v[5:6], v[3:4], off
	s_sendmsg sendmsg(MSG_INTERRUPT)
.LBB4_156:
	s_or_b64 exec, exec, s[14:15]
	s_branch .LBB4_160
.LBB4_157:                              ;   in Loop: Header=BB4_160 Depth=1
	s_or_b64 exec, exec, s[14:15]
	v_readfirstlane_b32 s14, v3
	s_cmp_eq_u32 s14, 0
	s_cbranch_scc1 .LBB4_159
; %bb.158:                              ;   in Loop: Header=BB4_160 Depth=1
	s_sleep 1
	s_cbranch_execnz .LBB4_160
	s_branch .LBB4_162
.LBB4_159:
	s_branch .LBB4_162
.LBB4_160:                              ; =>This Inner Loop Header: Depth=1
	v_mov_b32_e32 v3, 1
	s_and_saveexec_b64 s[14:15], s[0:1]
	s_cbranch_execz .LBB4_157
; %bb.161:                              ;   in Loop: Header=BB4_160 Depth=1
	global_load_dword v3, v[0:1], off offset:20 glc
	s_waitcnt vmcnt(0)
	buffer_wbinvl1_vol
	v_and_b32_e32 v3, 1, v3
	s_branch .LBB4_157
.LBB4_162:
	global_load_dwordx2 v[3:4], v[10:11], off
	s_and_saveexec_b64 s[14:15], s[0:1]
	s_cbranch_execz .LBB4_165
; %bb.163:
	v_mov_b32_e32 v9, 0
	global_load_dwordx2 v[0:1], v9, s[8:9] offset:40
	global_load_dwordx2 v[12:13], v9, s[8:9] offset:24 glc
	global_load_dwordx2 v[5:6], v9, s[8:9]
	s_waitcnt vmcnt(2)
	v_readfirstlane_b32 s16, v0
	v_readfirstlane_b32 s17, v1
	s_add_u32 s18, s16, 1
	s_addc_u32 s19, s17, 0
	s_add_u32 s0, s18, s12
	s_addc_u32 s1, s19, s13
	s_cmp_eq_u64 s[0:1], 0
	s_cselect_b32 s1, s19, s1
	s_cselect_b32 s0, s18, s0
	s_and_b64 s[12:13], s[0:1], s[16:17]
	s_mul_i32 s13, s13, 24
	s_mul_hi_u32 s16, s12, 24
	s_mul_i32 s12, s12, 24
	s_add_i32 s13, s16, s13
	v_mov_b32_e32 v1, s13
	s_waitcnt vmcnt(0)
	v_add_co_u32_e32 v0, vcc, s12, v5
	v_addc_co_u32_e32 v1, vcc, v6, v1, vcc
	v_mov_b32_e32 v10, s0
	global_store_dwordx2 v[0:1], v[12:13], off
	v_mov_b32_e32 v11, s1
	s_waitcnt vmcnt(0)
	global_atomic_cmpswap_x2 v[7:8], v9, v[10:13], s[8:9] offset:24 glc
	s_mov_b64 s[12:13], 0
	s_waitcnt vmcnt(0)
	v_cmp_ne_u64_e32 vcc, v[7:8], v[12:13]
	s_and_b64 exec, exec, vcc
	s_cbranch_execz .LBB4_165
.LBB4_164:                              ; =>This Inner Loop Header: Depth=1
	s_sleep 1
	global_store_dwordx2 v[0:1], v[7:8], off
	v_mov_b32_e32 v5, s0
	v_mov_b32_e32 v6, s1
	s_waitcnt vmcnt(0)
	global_atomic_cmpswap_x2 v[5:6], v9, v[5:8], s[8:9] offset:24 glc
	s_waitcnt vmcnt(0)
	v_cmp_eq_u64_e32 vcc, v[5:6], v[7:8]
	v_mov_b32_e32 v8, v6
	s_or_b64 s[12:13], vcc, s[12:13]
	v_mov_b32_e32 v7, v5
	s_andn2_b64 exec, exec, s[12:13]
	s_cbranch_execnz .LBB4_164
.LBB4_165:
	s_or_b64 exec, exec, s[14:15]
	s_getpc_b64 s[12:13]
	s_add_u32 s12, s12, .str.4@rel32@lo+4
	s_addc_u32 s13, s13, .str.4@rel32@hi+12
	s_cmp_lg_u64 s[12:13], 0
	s_cbranch_scc0 .LBB4_251
; %bb.166:
	v_mov_b32_e32 v1, 0
	s_waitcnt vmcnt(0)
	v_and_b32_e32 v5, -3, v3
	v_mov_b32_e32 v6, v4
	s_mov_b64 s[14:15], 0x59
	v_mov_b32_e32 v11, 2
	v_mov_b32_e32 v12, 1
	s_branch .LBB4_168
.LBB4_167:                              ;   in Loop: Header=BB4_168 Depth=1
	s_or_b64 exec, exec, s[20:21]
	s_sub_u32 s14, s14, s16
	s_subb_u32 s15, s15, s17
	s_add_u32 s12, s12, s16
	s_addc_u32 s13, s13, s17
	s_cmp_lg_u64 s[14:15], 0
	s_cbranch_scc0 .LBB4_250
.LBB4_168:                              ; =>This Loop Header: Depth=1
                                        ;     Child Loop BB4_171 Depth 2
                                        ;     Child Loop BB4_179 Depth 2
	;; [unrolled: 1-line block ×11, first 2 shown]
	v_cmp_lt_u64_e64 s[0:1], s[14:15], 56
	v_cmp_gt_u64_e64 s[18:19], s[14:15], 7
	s_and_b64 s[0:1], s[0:1], exec
	s_cselect_b32 s17, s15, 0
	s_cselect_b32 s16, s14, 56
	s_add_u32 s0, s12, 8
	s_addc_u32 s1, s13, 0
	s_and_b64 vcc, exec, s[18:19]
	s_cbranch_vccnz .LBB4_172
; %bb.169:                              ;   in Loop: Header=BB4_168 Depth=1
	s_cmp_eq_u64 s[14:15], 0
	s_cbranch_scc1 .LBB4_173
; %bb.170:                              ;   in Loop: Header=BB4_168 Depth=1
	v_mov_b32_e32 v7, 0
	s_lshl_b64 s[0:1], s[16:17], 3
	s_mov_b64 s[18:19], 0
	v_mov_b32_e32 v8, 0
	s_mov_b64 s[20:21], s[12:13]
.LBB4_171:                              ;   Parent Loop BB4_168 Depth=1
                                        ; =>  This Inner Loop Header: Depth=2
	global_load_ubyte v0, v1, s[20:21]
	s_waitcnt vmcnt(0)
	v_and_b32_e32 v0, 0xffff, v0
	v_lshlrev_b64 v[9:10], s18, v[0:1]
	s_add_u32 s18, s18, 8
	s_addc_u32 s19, s19, 0
	s_add_u32 s20, s20, 1
	s_addc_u32 s21, s21, 0
	v_or_b32_e32 v7, v9, v7
	s_cmp_lg_u32 s0, s18
	v_or_b32_e32 v8, v10, v8
	s_cbranch_scc1 .LBB4_171
	s_branch .LBB4_174
.LBB4_172:                              ;   in Loop: Header=BB4_168 Depth=1
	s_mov_b32 s22, 0
	s_branch .LBB4_175
.LBB4_173:                              ;   in Loop: Header=BB4_168 Depth=1
	v_mov_b32_e32 v7, 0
	v_mov_b32_e32 v8, 0
.LBB4_174:                              ;   in Loop: Header=BB4_168 Depth=1
	s_mov_b64 s[0:1], s[12:13]
	s_mov_b32 s22, 0
	s_cbranch_execnz .LBB4_176
.LBB4_175:                              ;   in Loop: Header=BB4_168 Depth=1
	global_load_dwordx2 v[7:8], v1, s[12:13]
	s_add_i32 s22, s16, -8
.LBB4_176:                              ;   in Loop: Header=BB4_168 Depth=1
	s_add_u32 s18, s0, 8
	s_addc_u32 s19, s1, 0
	s_cmp_gt_u32 s22, 7
	s_cbranch_scc1 .LBB4_180
; %bb.177:                              ;   in Loop: Header=BB4_168 Depth=1
	s_cmp_eq_u32 s22, 0
	s_cbranch_scc1 .LBB4_181
; %bb.178:                              ;   in Loop: Header=BB4_168 Depth=1
	v_mov_b32_e32 v13, 0
	s_mov_b64 s[18:19], 0
	v_mov_b32_e32 v14, 0
	s_mov_b64 s[20:21], 0
.LBB4_179:                              ;   Parent Loop BB4_168 Depth=1
                                        ; =>  This Inner Loop Header: Depth=2
	s_add_u32 s24, s0, s20
	s_addc_u32 s25, s1, s21
	global_load_ubyte v0, v1, s[24:25]
	s_add_u32 s20, s20, 1
	s_addc_u32 s21, s21, 0
	s_waitcnt vmcnt(0)
	v_and_b32_e32 v0, 0xffff, v0
	v_lshlrev_b64 v[9:10], s18, v[0:1]
	s_add_u32 s18, s18, 8
	s_addc_u32 s19, s19, 0
	v_or_b32_e32 v13, v9, v13
	s_cmp_lg_u32 s22, s20
	v_or_b32_e32 v14, v10, v14
	s_cbranch_scc1 .LBB4_179
	s_branch .LBB4_182
.LBB4_180:                              ;   in Loop: Header=BB4_168 Depth=1
                                        ; implicit-def: $vgpr13_vgpr14
	s_mov_b32 s23, 0
	s_branch .LBB4_183
.LBB4_181:                              ;   in Loop: Header=BB4_168 Depth=1
	v_mov_b32_e32 v13, 0
	v_mov_b32_e32 v14, 0
.LBB4_182:                              ;   in Loop: Header=BB4_168 Depth=1
	s_mov_b64 s[18:19], s[0:1]
	s_mov_b32 s23, 0
	s_cbranch_execnz .LBB4_184
.LBB4_183:                              ;   in Loop: Header=BB4_168 Depth=1
	global_load_dwordx2 v[13:14], v1, s[0:1]
	s_add_i32 s23, s22, -8
.LBB4_184:                              ;   in Loop: Header=BB4_168 Depth=1
	s_add_u32 s0, s18, 8
	s_addc_u32 s1, s19, 0
	s_cmp_gt_u32 s23, 7
	s_cbranch_scc1 .LBB4_188
; %bb.185:                              ;   in Loop: Header=BB4_168 Depth=1
	s_cmp_eq_u32 s23, 0
	s_cbranch_scc1 .LBB4_189
; %bb.186:                              ;   in Loop: Header=BB4_168 Depth=1
	v_mov_b32_e32 v15, 0
	s_mov_b64 s[0:1], 0
	v_mov_b32_e32 v16, 0
	s_mov_b64 s[20:21], 0
.LBB4_187:                              ;   Parent Loop BB4_168 Depth=1
                                        ; =>  This Inner Loop Header: Depth=2
	s_add_u32 s24, s18, s20
	s_addc_u32 s25, s19, s21
	global_load_ubyte v0, v1, s[24:25]
	s_add_u32 s20, s20, 1
	s_addc_u32 s21, s21, 0
	s_waitcnt vmcnt(0)
	v_and_b32_e32 v0, 0xffff, v0
	v_lshlrev_b64 v[9:10], s0, v[0:1]
	s_add_u32 s0, s0, 8
	s_addc_u32 s1, s1, 0
	v_or_b32_e32 v15, v9, v15
	s_cmp_lg_u32 s23, s20
	v_or_b32_e32 v16, v10, v16
	s_cbranch_scc1 .LBB4_187
	s_branch .LBB4_190
.LBB4_188:                              ;   in Loop: Header=BB4_168 Depth=1
	s_mov_b32 s22, 0
	s_branch .LBB4_191
.LBB4_189:                              ;   in Loop: Header=BB4_168 Depth=1
	v_mov_b32_e32 v15, 0
	v_mov_b32_e32 v16, 0
.LBB4_190:                              ;   in Loop: Header=BB4_168 Depth=1
	s_mov_b64 s[0:1], s[18:19]
	s_mov_b32 s22, 0
	s_cbranch_execnz .LBB4_192
.LBB4_191:                              ;   in Loop: Header=BB4_168 Depth=1
	global_load_dwordx2 v[15:16], v1, s[18:19]
	s_add_i32 s22, s23, -8
.LBB4_192:                              ;   in Loop: Header=BB4_168 Depth=1
	s_add_u32 s18, s0, 8
	s_addc_u32 s19, s1, 0
	s_cmp_gt_u32 s22, 7
	s_cbranch_scc1 .LBB4_196
; %bb.193:                              ;   in Loop: Header=BB4_168 Depth=1
	s_cmp_eq_u32 s22, 0
	s_cbranch_scc1 .LBB4_197
; %bb.194:                              ;   in Loop: Header=BB4_168 Depth=1
	v_mov_b32_e32 v17, 0
	s_mov_b64 s[18:19], 0
	v_mov_b32_e32 v18, 0
	s_mov_b64 s[20:21], 0
.LBB4_195:                              ;   Parent Loop BB4_168 Depth=1
                                        ; =>  This Inner Loop Header: Depth=2
	s_add_u32 s24, s0, s20
	s_addc_u32 s25, s1, s21
	global_load_ubyte v0, v1, s[24:25]
	s_add_u32 s20, s20, 1
	s_addc_u32 s21, s21, 0
	s_waitcnt vmcnt(0)
	v_and_b32_e32 v0, 0xffff, v0
	v_lshlrev_b64 v[9:10], s18, v[0:1]
	s_add_u32 s18, s18, 8
	s_addc_u32 s19, s19, 0
	v_or_b32_e32 v17, v9, v17
	s_cmp_lg_u32 s22, s20
	v_or_b32_e32 v18, v10, v18
	s_cbranch_scc1 .LBB4_195
	s_branch .LBB4_198
.LBB4_196:                              ;   in Loop: Header=BB4_168 Depth=1
                                        ; implicit-def: $vgpr17_vgpr18
	s_mov_b32 s23, 0
	s_branch .LBB4_199
.LBB4_197:                              ;   in Loop: Header=BB4_168 Depth=1
	v_mov_b32_e32 v17, 0
	v_mov_b32_e32 v18, 0
.LBB4_198:                              ;   in Loop: Header=BB4_168 Depth=1
	s_mov_b64 s[18:19], s[0:1]
	s_mov_b32 s23, 0
	s_cbranch_execnz .LBB4_200
.LBB4_199:                              ;   in Loop: Header=BB4_168 Depth=1
	global_load_dwordx2 v[17:18], v1, s[0:1]
	s_add_i32 s23, s22, -8
.LBB4_200:                              ;   in Loop: Header=BB4_168 Depth=1
	s_add_u32 s0, s18, 8
	s_addc_u32 s1, s19, 0
	s_cmp_gt_u32 s23, 7
	s_cbranch_scc1 .LBB4_204
; %bb.201:                              ;   in Loop: Header=BB4_168 Depth=1
	s_cmp_eq_u32 s23, 0
	s_cbranch_scc1 .LBB4_205
; %bb.202:                              ;   in Loop: Header=BB4_168 Depth=1
	v_mov_b32_e32 v19, 0
	s_mov_b64 s[0:1], 0
	v_mov_b32_e32 v20, 0
	s_mov_b64 s[20:21], 0
.LBB4_203:                              ;   Parent Loop BB4_168 Depth=1
                                        ; =>  This Inner Loop Header: Depth=2
	s_add_u32 s24, s18, s20
	s_addc_u32 s25, s19, s21
	global_load_ubyte v0, v1, s[24:25]
	s_add_u32 s20, s20, 1
	s_addc_u32 s21, s21, 0
	s_waitcnt vmcnt(0)
	v_and_b32_e32 v0, 0xffff, v0
	v_lshlrev_b64 v[9:10], s0, v[0:1]
	s_add_u32 s0, s0, 8
	s_addc_u32 s1, s1, 0
	v_or_b32_e32 v19, v9, v19
	s_cmp_lg_u32 s23, s20
	v_or_b32_e32 v20, v10, v20
	s_cbranch_scc1 .LBB4_203
	s_branch .LBB4_206
.LBB4_204:                              ;   in Loop: Header=BB4_168 Depth=1
	s_mov_b32 s22, 0
	s_branch .LBB4_207
.LBB4_205:                              ;   in Loop: Header=BB4_168 Depth=1
	v_mov_b32_e32 v19, 0
	v_mov_b32_e32 v20, 0
.LBB4_206:                              ;   in Loop: Header=BB4_168 Depth=1
	s_mov_b64 s[0:1], s[18:19]
	s_mov_b32 s22, 0
	s_cbranch_execnz .LBB4_208
.LBB4_207:                              ;   in Loop: Header=BB4_168 Depth=1
	global_load_dwordx2 v[19:20], v1, s[18:19]
	s_add_i32 s22, s23, -8
.LBB4_208:                              ;   in Loop: Header=BB4_168 Depth=1
	s_add_u32 s18, s0, 8
	s_addc_u32 s19, s1, 0
	s_cmp_gt_u32 s22, 7
	s_cbranch_scc1 .LBB4_212
; %bb.209:                              ;   in Loop: Header=BB4_168 Depth=1
	s_cmp_eq_u32 s22, 0
	s_cbranch_scc1 .LBB4_213
; %bb.210:                              ;   in Loop: Header=BB4_168 Depth=1
	v_mov_b32_e32 v21, 0
	s_mov_b64 s[18:19], 0
	v_mov_b32_e32 v22, 0
	s_mov_b64 s[20:21], 0
.LBB4_211:                              ;   Parent Loop BB4_168 Depth=1
                                        ; =>  This Inner Loop Header: Depth=2
	s_add_u32 s24, s0, s20
	s_addc_u32 s25, s1, s21
	global_load_ubyte v0, v1, s[24:25]
	s_add_u32 s20, s20, 1
	s_addc_u32 s21, s21, 0
	s_waitcnt vmcnt(0)
	v_and_b32_e32 v0, 0xffff, v0
	v_lshlrev_b64 v[9:10], s18, v[0:1]
	s_add_u32 s18, s18, 8
	s_addc_u32 s19, s19, 0
	v_or_b32_e32 v21, v9, v21
	s_cmp_lg_u32 s22, s20
	v_or_b32_e32 v22, v10, v22
	s_cbranch_scc1 .LBB4_211
	s_branch .LBB4_214
.LBB4_212:                              ;   in Loop: Header=BB4_168 Depth=1
                                        ; implicit-def: $vgpr21_vgpr22
	s_mov_b32 s23, 0
	s_branch .LBB4_215
.LBB4_213:                              ;   in Loop: Header=BB4_168 Depth=1
	v_mov_b32_e32 v21, 0
	v_mov_b32_e32 v22, 0
.LBB4_214:                              ;   in Loop: Header=BB4_168 Depth=1
	s_mov_b64 s[18:19], s[0:1]
	s_mov_b32 s23, 0
	s_cbranch_execnz .LBB4_216
.LBB4_215:                              ;   in Loop: Header=BB4_168 Depth=1
	global_load_dwordx2 v[21:22], v1, s[0:1]
	s_add_i32 s23, s22, -8
.LBB4_216:                              ;   in Loop: Header=BB4_168 Depth=1
	s_cmp_gt_u32 s23, 7
	s_cbranch_scc1 .LBB4_220
; %bb.217:                              ;   in Loop: Header=BB4_168 Depth=1
	s_cmp_eq_u32 s23, 0
	s_cbranch_scc1 .LBB4_221
; %bb.218:                              ;   in Loop: Header=BB4_168 Depth=1
	v_mov_b32_e32 v23, 0
	s_mov_b64 s[0:1], 0
	v_mov_b32_e32 v24, 0
	s_mov_b64 s[20:21], s[18:19]
.LBB4_219:                              ;   Parent Loop BB4_168 Depth=1
                                        ; =>  This Inner Loop Header: Depth=2
	global_load_ubyte v0, v1, s[20:21]
	s_add_i32 s23, s23, -1
	s_waitcnt vmcnt(0)
	v_and_b32_e32 v0, 0xffff, v0
	v_lshlrev_b64 v[9:10], s0, v[0:1]
	s_add_u32 s0, s0, 8
	s_addc_u32 s1, s1, 0
	s_add_u32 s20, s20, 1
	s_addc_u32 s21, s21, 0
	v_or_b32_e32 v23, v9, v23
	s_cmp_lg_u32 s23, 0
	v_or_b32_e32 v24, v10, v24
	s_cbranch_scc1 .LBB4_219
	s_branch .LBB4_222
.LBB4_220:                              ;   in Loop: Header=BB4_168 Depth=1
	s_branch .LBB4_223
.LBB4_221:                              ;   in Loop: Header=BB4_168 Depth=1
	v_mov_b32_e32 v23, 0
	v_mov_b32_e32 v24, 0
.LBB4_222:                              ;   in Loop: Header=BB4_168 Depth=1
	s_cbranch_execnz .LBB4_224
.LBB4_223:                              ;   in Loop: Header=BB4_168 Depth=1
	global_load_dwordx2 v[23:24], v1, s[18:19]
.LBB4_224:                              ;   in Loop: Header=BB4_168 Depth=1
	v_readfirstlane_b32 s0, v32
	v_mov_b32_e32 v9, 0
	v_mov_b32_e32 v10, 0
	v_cmp_eq_u32_e64 s[0:1], s0, v32
	s_and_saveexec_b64 s[18:19], s[0:1]
	s_cbranch_execz .LBB4_230
; %bb.225:                              ;   in Loop: Header=BB4_168 Depth=1
	global_load_dwordx2 v[27:28], v1, s[8:9] offset:24 glc
	s_waitcnt vmcnt(0)
	buffer_wbinvl1_vol
	global_load_dwordx2 v[9:10], v1, s[8:9] offset:40
	global_load_dwordx2 v[25:26], v1, s[8:9]
	s_waitcnt vmcnt(1)
	v_and_b32_e32 v0, v9, v27
	v_and_b32_e32 v9, v10, v28
	v_mul_lo_u32 v9, v9, 24
	v_mul_hi_u32 v10, v0, 24
	v_mul_lo_u32 v0, v0, 24
	v_add_u32_e32 v10, v10, v9
	s_waitcnt vmcnt(0)
	v_add_co_u32_e32 v9, vcc, v25, v0
	v_addc_co_u32_e32 v10, vcc, v26, v10, vcc
	global_load_dwordx2 v[25:26], v[9:10], off glc
	s_waitcnt vmcnt(0)
	global_atomic_cmpswap_x2 v[9:10], v1, v[25:28], s[8:9] offset:24 glc
	s_waitcnt vmcnt(0)
	buffer_wbinvl1_vol
	v_cmp_ne_u64_e32 vcc, v[9:10], v[27:28]
	s_and_saveexec_b64 s[20:21], vcc
	s_cbranch_execz .LBB4_229
; %bb.226:                              ;   in Loop: Header=BB4_168 Depth=1
	s_mov_b64 s[22:23], 0
.LBB4_227:                              ;   Parent Loop BB4_168 Depth=1
                                        ; =>  This Inner Loop Header: Depth=2
	s_sleep 1
	global_load_dwordx2 v[25:26], v1, s[8:9] offset:40
	global_load_dwordx2 v[29:30], v1, s[8:9]
	v_mov_b32_e32 v28, v10
	v_mov_b32_e32 v27, v9
	s_waitcnt vmcnt(1)
	v_and_b32_e32 v0, v25, v27
	s_waitcnt vmcnt(0)
	v_mad_u64_u32 v[9:10], s[24:25], v0, 24, v[29:30]
	v_and_b32_e32 v25, v26, v28
	v_mov_b32_e32 v0, v10
	v_mad_u64_u32 v[25:26], s[24:25], v25, 24, v[0:1]
	v_mov_b32_e32 v10, v25
	global_load_dwordx2 v[25:26], v[9:10], off glc
	s_waitcnt vmcnt(0)
	global_atomic_cmpswap_x2 v[9:10], v1, v[25:28], s[8:9] offset:24 glc
	s_waitcnt vmcnt(0)
	buffer_wbinvl1_vol
	v_cmp_eq_u64_e32 vcc, v[9:10], v[27:28]
	s_or_b64 s[22:23], vcc, s[22:23]
	s_andn2_b64 exec, exec, s[22:23]
	s_cbranch_execnz .LBB4_227
; %bb.228:                              ;   in Loop: Header=BB4_168 Depth=1
	s_or_b64 exec, exec, s[22:23]
.LBB4_229:                              ;   in Loop: Header=BB4_168 Depth=1
	s_or_b64 exec, exec, s[20:21]
.LBB4_230:                              ;   in Loop: Header=BB4_168 Depth=1
	s_or_b64 exec, exec, s[18:19]
	global_load_dwordx2 v[29:30], v1, s[8:9] offset:40
	global_load_dwordx4 v[25:28], v1, s[8:9]
	v_readfirstlane_b32 s19, v10
	v_readfirstlane_b32 s18, v9
	s_mov_b64 s[20:21], exec
	s_waitcnt vmcnt(1)
	v_readfirstlane_b32 s22, v29
	v_readfirstlane_b32 s23, v30
	s_and_b64 s[22:23], s[22:23], s[18:19]
	s_mul_i32 s24, s23, 24
	s_mul_hi_u32 s25, s22, 24
	s_mul_i32 s26, s22, 24
	s_add_i32 s24, s25, s24
	v_mov_b32_e32 v0, s24
	s_waitcnt vmcnt(0)
	v_add_co_u32_e32 v29, vcc, s26, v25
	v_addc_co_u32_e32 v30, vcc, v26, v0, vcc
	s_and_saveexec_b64 s[24:25], s[0:1]
	s_cbranch_execz .LBB4_232
; %bb.231:                              ;   in Loop: Header=BB4_168 Depth=1
	v_mov_b32_e32 v9, s20
	v_mov_b32_e32 v10, s21
	global_store_dwordx4 v[29:30], v[9:12], off offset:8
.LBB4_232:                              ;   in Loop: Header=BB4_168 Depth=1
	s_or_b64 exec, exec, s[24:25]
	s_lshl_b64 s[20:21], s[22:23], 12
	v_mov_b32_e32 v0, s21
	v_add_co_u32_e32 v27, vcc, s20, v27
	v_addc_co_u32_e32 v28, vcc, v28, v0, vcc
	v_cmp_lt_u64_e64 vcc, s[14:15], 57
	v_and_b32_e32 v0, 2, v3
	s_lshl_b32 s20, s16, 2
	v_cndmask_b32_e32 v0, 0, v0, vcc
	s_add_i32 s20, s20, 28
	v_and_b32_e32 v5, 0xffffff1f, v5
	s_and_b32 s20, s20, 0x1e0
	v_or_b32_e32 v0, v5, v0
	v_or_b32_e32 v5, s20, v0
	v_readfirstlane_b32 s20, v27
	v_readfirstlane_b32 s21, v28
	s_nop 4
	global_store_dwordx4 v31, v[5:8], s[20:21]
	global_store_dwordx4 v31, v[13:16], s[20:21] offset:16
	global_store_dwordx4 v31, v[17:20], s[20:21] offset:32
	;; [unrolled: 1-line block ×3, first 2 shown]
	s_and_saveexec_b64 s[20:21], s[0:1]
	s_cbranch_execz .LBB4_240
; %bb.233:                              ;   in Loop: Header=BB4_168 Depth=1
	global_load_dwordx2 v[15:16], v1, s[8:9] offset:32 glc
	global_load_dwordx2 v[5:6], v1, s[8:9] offset:40
	v_mov_b32_e32 v13, s18
	v_mov_b32_e32 v14, s19
	s_waitcnt vmcnt(0)
	v_readfirstlane_b32 s22, v5
	v_readfirstlane_b32 s23, v6
	s_and_b64 s[22:23], s[22:23], s[18:19]
	s_mul_i32 s23, s23, 24
	s_mul_hi_u32 s24, s22, 24
	s_mul_i32 s22, s22, 24
	s_add_i32 s23, s24, s23
	v_mov_b32_e32 v0, s23
	v_add_co_u32_e32 v9, vcc, s22, v25
	v_addc_co_u32_e32 v10, vcc, v26, v0, vcc
	global_store_dwordx2 v[9:10], v[15:16], off
	s_waitcnt vmcnt(0)
	global_atomic_cmpswap_x2 v[7:8], v1, v[13:16], s[8:9] offset:32 glc
	s_waitcnt vmcnt(0)
	v_cmp_ne_u64_e32 vcc, v[7:8], v[15:16]
	s_and_saveexec_b64 s[22:23], vcc
	s_cbranch_execz .LBB4_236
; %bb.234:                              ;   in Loop: Header=BB4_168 Depth=1
	s_mov_b64 s[24:25], 0
.LBB4_235:                              ;   Parent Loop BB4_168 Depth=1
                                        ; =>  This Inner Loop Header: Depth=2
	s_sleep 1
	global_store_dwordx2 v[9:10], v[7:8], off
	v_mov_b32_e32 v5, s18
	v_mov_b32_e32 v6, s19
	s_waitcnt vmcnt(0)
	global_atomic_cmpswap_x2 v[5:6], v1, v[5:8], s[8:9] offset:32 glc
	s_waitcnt vmcnt(0)
	v_cmp_eq_u64_e32 vcc, v[5:6], v[7:8]
	v_mov_b32_e32 v8, v6
	s_or_b64 s[24:25], vcc, s[24:25]
	v_mov_b32_e32 v7, v5
	s_andn2_b64 exec, exec, s[24:25]
	s_cbranch_execnz .LBB4_235
.LBB4_236:                              ;   in Loop: Header=BB4_168 Depth=1
	s_or_b64 exec, exec, s[22:23]
	global_load_dwordx2 v[5:6], v1, s[8:9] offset:16
	s_mov_b64 s[24:25], exec
	v_mbcnt_lo_u32_b32 v0, s24, 0
	v_mbcnt_hi_u32_b32 v0, s25, v0
	v_cmp_eq_u32_e32 vcc, 0, v0
	s_and_saveexec_b64 s[22:23], vcc
	s_cbranch_execz .LBB4_238
; %bb.237:                              ;   in Loop: Header=BB4_168 Depth=1
	s_bcnt1_i32_b64 s24, s[24:25]
	v_mov_b32_e32 v0, s24
	s_waitcnt vmcnt(0)
	global_atomic_add_x2 v[5:6], v[0:1], off offset:8
.LBB4_238:                              ;   in Loop: Header=BB4_168 Depth=1
	s_or_b64 exec, exec, s[22:23]
	s_waitcnt vmcnt(0)
	global_load_dwordx2 v[7:8], v[5:6], off offset:16
	s_waitcnt vmcnt(0)
	v_cmp_eq_u64_e32 vcc, 0, v[7:8]
	s_cbranch_vccnz .LBB4_240
; %bb.239:                              ;   in Loop: Header=BB4_168 Depth=1
	global_load_dword v0, v[5:6], off offset:24
	s_waitcnt vmcnt(0)
	v_readfirstlane_b32 s22, v0
	s_and_b32 m0, s22, 0xffffff
	global_store_dwordx2 v[7:8], v[0:1], off
	s_sendmsg sendmsg(MSG_INTERRUPT)
.LBB4_240:                              ;   in Loop: Header=BB4_168 Depth=1
	s_or_b64 exec, exec, s[20:21]
	v_add_co_u32_e32 v5, vcc, v27, v31
	v_addc_co_u32_e32 v6, vcc, 0, v28, vcc
	s_branch .LBB4_244
.LBB4_241:                              ;   in Loop: Header=BB4_244 Depth=2
	s_or_b64 exec, exec, s[20:21]
	v_readfirstlane_b32 s20, v0
	s_cmp_eq_u32 s20, 0
	s_cbranch_scc1 .LBB4_243
; %bb.242:                              ;   in Loop: Header=BB4_244 Depth=2
	s_sleep 1
	s_cbranch_execnz .LBB4_244
	s_branch .LBB4_246
.LBB4_243:                              ;   in Loop: Header=BB4_168 Depth=1
	s_branch .LBB4_246
.LBB4_244:                              ;   Parent Loop BB4_168 Depth=1
                                        ; =>  This Inner Loop Header: Depth=2
	v_mov_b32_e32 v0, 1
	s_and_saveexec_b64 s[20:21], s[0:1]
	s_cbranch_execz .LBB4_241
; %bb.245:                              ;   in Loop: Header=BB4_244 Depth=2
	global_load_dword v0, v[29:30], off offset:20 glc
	s_waitcnt vmcnt(0)
	buffer_wbinvl1_vol
	v_and_b32_e32 v0, 1, v0
	s_branch .LBB4_241
.LBB4_246:                              ;   in Loop: Header=BB4_168 Depth=1
	global_load_dwordx2 v[5:6], v[5:6], off
	s_and_saveexec_b64 s[20:21], s[0:1]
	s_cbranch_execz .LBB4_167
; %bb.247:                              ;   in Loop: Header=BB4_168 Depth=1
	global_load_dwordx2 v[7:8], v1, s[8:9] offset:40
	global_load_dwordx2 v[17:18], v1, s[8:9] offset:24 glc
	global_load_dwordx2 v[9:10], v1, s[8:9]
	s_waitcnt vmcnt(2)
	v_readfirstlane_b32 s22, v7
	v_readfirstlane_b32 s23, v8
	s_add_u32 s24, s22, 1
	s_addc_u32 s25, s23, 0
	s_add_u32 s0, s24, s18
	s_addc_u32 s1, s25, s19
	s_cmp_eq_u64 s[0:1], 0
	s_cselect_b32 s1, s25, s1
	s_cselect_b32 s0, s24, s0
	s_and_b64 s[18:19], s[0:1], s[22:23]
	s_mul_i32 s19, s19, 24
	s_mul_hi_u32 s22, s18, 24
	s_mul_i32 s18, s18, 24
	s_add_i32 s19, s22, s19
	v_mov_b32_e32 v0, s19
	s_waitcnt vmcnt(0)
	v_add_co_u32_e32 v13, vcc, s18, v9
	v_addc_co_u32_e32 v14, vcc, v10, v0, vcc
	v_mov_b32_e32 v15, s0
	global_store_dwordx2 v[13:14], v[17:18], off
	v_mov_b32_e32 v16, s1
	s_waitcnt vmcnt(0)
	global_atomic_cmpswap_x2 v[9:10], v1, v[15:18], s[8:9] offset:24 glc
	s_waitcnt vmcnt(0)
	v_cmp_ne_u64_e32 vcc, v[9:10], v[17:18]
	s_and_b64 exec, exec, vcc
	s_cbranch_execz .LBB4_167
; %bb.248:                              ;   in Loop: Header=BB4_168 Depth=1
	s_mov_b64 s[18:19], 0
.LBB4_249:                              ;   Parent Loop BB4_168 Depth=1
                                        ; =>  This Inner Loop Header: Depth=2
	s_sleep 1
	global_store_dwordx2 v[13:14], v[9:10], off
	v_mov_b32_e32 v7, s0
	v_mov_b32_e32 v8, s1
	s_waitcnt vmcnt(0)
	global_atomic_cmpswap_x2 v[7:8], v1, v[7:10], s[8:9] offset:24 glc
	s_waitcnt vmcnt(0)
	v_cmp_eq_u64_e32 vcc, v[7:8], v[9:10]
	v_mov_b32_e32 v10, v8
	s_or_b64 s[18:19], vcc, s[18:19]
	v_mov_b32_e32 v9, v7
	s_andn2_b64 exec, exec, s[18:19]
	s_cbranch_execnz .LBB4_249
	s_branch .LBB4_167
.LBB4_250:
	s_branch .LBB4_278
.LBB4_251:
                                        ; implicit-def: $vgpr5_vgpr6
	s_cbranch_execz .LBB4_278
; %bb.252:
	v_readfirstlane_b32 s0, v32
	v_mov_b32_e32 v0, 0
	v_mov_b32_e32 v1, 0
	v_cmp_eq_u32_e64 s[0:1], s0, v32
	s_and_saveexec_b64 s[12:13], s[0:1]
	s_cbranch_execz .LBB4_258
; %bb.253:
	s_waitcnt vmcnt(0)
	v_mov_b32_e32 v5, 0
	global_load_dwordx2 v[8:9], v5, s[8:9] offset:24 glc
	s_waitcnt vmcnt(0)
	buffer_wbinvl1_vol
	global_load_dwordx2 v[0:1], v5, s[8:9] offset:40
	global_load_dwordx2 v[6:7], v5, s[8:9]
	s_waitcnt vmcnt(1)
	v_and_b32_e32 v0, v0, v8
	v_and_b32_e32 v1, v1, v9
	v_mul_lo_u32 v1, v1, 24
	v_mul_hi_u32 v10, v0, 24
	v_mul_lo_u32 v0, v0, 24
	v_add_u32_e32 v1, v10, v1
	s_waitcnt vmcnt(0)
	v_add_co_u32_e32 v0, vcc, v6, v0
	v_addc_co_u32_e32 v1, vcc, v7, v1, vcc
	global_load_dwordx2 v[6:7], v[0:1], off glc
	s_waitcnt vmcnt(0)
	global_atomic_cmpswap_x2 v[0:1], v5, v[6:9], s[8:9] offset:24 glc
	s_waitcnt vmcnt(0)
	buffer_wbinvl1_vol
	v_cmp_ne_u64_e32 vcc, v[0:1], v[8:9]
	s_and_saveexec_b64 s[14:15], vcc
	s_cbranch_execz .LBB4_257
; %bb.254:
	s_mov_b64 s[16:17], 0
.LBB4_255:                              ; =>This Inner Loop Header: Depth=1
	s_sleep 1
	global_load_dwordx2 v[6:7], v5, s[8:9] offset:40
	global_load_dwordx2 v[10:11], v5, s[8:9]
	v_mov_b32_e32 v9, v1
	v_mov_b32_e32 v8, v0
	s_waitcnt vmcnt(1)
	v_and_b32_e32 v0, v6, v8
	s_waitcnt vmcnt(0)
	v_mad_u64_u32 v[0:1], s[18:19], v0, 24, v[10:11]
	v_and_b32_e32 v6, v7, v9
	v_mad_u64_u32 v[6:7], s[18:19], v6, 24, v[1:2]
	v_mov_b32_e32 v1, v6
	global_load_dwordx2 v[6:7], v[0:1], off glc
	s_waitcnt vmcnt(0)
	global_atomic_cmpswap_x2 v[0:1], v5, v[6:9], s[8:9] offset:24 glc
	s_waitcnt vmcnt(0)
	buffer_wbinvl1_vol
	v_cmp_eq_u64_e32 vcc, v[0:1], v[8:9]
	s_or_b64 s[16:17], vcc, s[16:17]
	s_andn2_b64 exec, exec, s[16:17]
	s_cbranch_execnz .LBB4_255
; %bb.256:
	s_or_b64 exec, exec, s[16:17]
.LBB4_257:
	s_or_b64 exec, exec, s[14:15]
.LBB4_258:
	s_or_b64 exec, exec, s[12:13]
	s_waitcnt vmcnt(0)
	v_mov_b32_e32 v5, 0
	global_load_dwordx2 v[11:12], v5, s[8:9] offset:40
	global_load_dwordx4 v[7:10], v5, s[8:9]
	v_readfirstlane_b32 s13, v1
	v_readfirstlane_b32 s12, v0
	s_mov_b64 s[14:15], exec
	s_waitcnt vmcnt(1)
	v_readfirstlane_b32 s16, v11
	v_readfirstlane_b32 s17, v12
	s_and_b64 s[16:17], s[16:17], s[12:13]
	s_mul_i32 s18, s17, 24
	s_mul_hi_u32 s19, s16, 24
	s_mul_i32 s20, s16, 24
	s_add_i32 s18, s19, s18
	v_mov_b32_e32 v1, s18
	s_waitcnt vmcnt(0)
	v_add_co_u32_e32 v0, vcc, s20, v7
	v_addc_co_u32_e32 v1, vcc, v8, v1, vcc
	s_and_saveexec_b64 s[18:19], s[0:1]
	s_cbranch_execz .LBB4_260
; %bb.259:
	v_mov_b32_e32 v11, s14
	v_mov_b32_e32 v12, s15
	;; [unrolled: 1-line block ×4, first 2 shown]
	global_store_dwordx4 v[0:1], v[11:14], off offset:8
.LBB4_260:
	s_or_b64 exec, exec, s[18:19]
	s_lshl_b64 s[14:15], s[16:17], 12
	v_mov_b32_e32 v6, s15
	v_add_co_u32_e32 v11, vcc, s14, v9
	v_addc_co_u32_e32 v12, vcc, v10, v6, vcc
	s_movk_i32 s14, 0xff1f
	v_and_or_b32 v3, v3, s14, 32
	s_mov_b32 s16, 0
	v_mov_b32_e32 v6, v5
	v_readfirstlane_b32 s14, v11
	v_readfirstlane_b32 s15, v12
	v_add_co_u32_e32 v9, vcc, v11, v31
	s_mov_b32 s17, s16
	s_mov_b32 s18, s16
	;; [unrolled: 1-line block ×3, first 2 shown]
	s_nop 0
	global_store_dwordx4 v31, v[3:6], s[14:15]
	v_addc_co_u32_e32 v10, vcc, 0, v12, vcc
	v_mov_b32_e32 v3, s16
	v_mov_b32_e32 v4, s17
	;; [unrolled: 1-line block ×4, first 2 shown]
	global_store_dwordx4 v31, v[3:6], s[14:15] offset:16
	global_store_dwordx4 v31, v[3:6], s[14:15] offset:32
	;; [unrolled: 1-line block ×3, first 2 shown]
	s_and_saveexec_b64 s[14:15], s[0:1]
	s_cbranch_execz .LBB4_268
; %bb.261:
	v_mov_b32_e32 v11, 0
	global_load_dwordx2 v[14:15], v11, s[8:9] offset:32 glc
	global_load_dwordx2 v[3:4], v11, s[8:9] offset:40
	v_mov_b32_e32 v12, s12
	v_mov_b32_e32 v13, s13
	s_waitcnt vmcnt(0)
	v_readfirstlane_b32 s16, v3
	v_readfirstlane_b32 s17, v4
	s_and_b64 s[16:17], s[16:17], s[12:13]
	s_mul_i32 s17, s17, 24
	s_mul_hi_u32 s18, s16, 24
	s_mul_i32 s16, s16, 24
	s_add_i32 s17, s18, s17
	v_mov_b32_e32 v3, s17
	v_add_co_u32_e32 v7, vcc, s16, v7
	v_addc_co_u32_e32 v8, vcc, v8, v3, vcc
	global_store_dwordx2 v[7:8], v[14:15], off
	s_waitcnt vmcnt(0)
	global_atomic_cmpswap_x2 v[5:6], v11, v[12:15], s[8:9] offset:32 glc
	s_waitcnt vmcnt(0)
	v_cmp_ne_u64_e32 vcc, v[5:6], v[14:15]
	s_and_saveexec_b64 s[16:17], vcc
	s_cbranch_execz .LBB4_264
; %bb.262:
	s_mov_b64 s[18:19], 0
.LBB4_263:                              ; =>This Inner Loop Header: Depth=1
	s_sleep 1
	global_store_dwordx2 v[7:8], v[5:6], off
	v_mov_b32_e32 v3, s12
	v_mov_b32_e32 v4, s13
	s_waitcnt vmcnt(0)
	global_atomic_cmpswap_x2 v[3:4], v11, v[3:6], s[8:9] offset:32 glc
	s_waitcnt vmcnt(0)
	v_cmp_eq_u64_e32 vcc, v[3:4], v[5:6]
	v_mov_b32_e32 v6, v4
	s_or_b64 s[18:19], vcc, s[18:19]
	v_mov_b32_e32 v5, v3
	s_andn2_b64 exec, exec, s[18:19]
	s_cbranch_execnz .LBB4_263
.LBB4_264:
	s_or_b64 exec, exec, s[16:17]
	v_mov_b32_e32 v6, 0
	global_load_dwordx2 v[3:4], v6, s[8:9] offset:16
	s_mov_b64 s[16:17], exec
	v_mbcnt_lo_u32_b32 v5, s16, 0
	v_mbcnt_hi_u32_b32 v5, s17, v5
	v_cmp_eq_u32_e32 vcc, 0, v5
	s_and_saveexec_b64 s[18:19], vcc
	s_cbranch_execz .LBB4_266
; %bb.265:
	s_bcnt1_i32_b64 s16, s[16:17]
	v_mov_b32_e32 v5, s16
	s_waitcnt vmcnt(0)
	global_atomic_add_x2 v[3:4], v[5:6], off offset:8
.LBB4_266:
	s_or_b64 exec, exec, s[18:19]
	s_waitcnt vmcnt(0)
	global_load_dwordx2 v[5:6], v[3:4], off offset:16
	s_waitcnt vmcnt(0)
	v_cmp_eq_u64_e32 vcc, 0, v[5:6]
	s_cbranch_vccnz .LBB4_268
; %bb.267:
	global_load_dword v3, v[3:4], off offset:24
	v_mov_b32_e32 v4, 0
	s_waitcnt vmcnt(0)
	v_readfirstlane_b32 s16, v3
	s_and_b32 m0, s16, 0xffffff
	global_store_dwordx2 v[5:6], v[3:4], off
	s_sendmsg sendmsg(MSG_INTERRUPT)
.LBB4_268:
	s_or_b64 exec, exec, s[14:15]
	s_branch .LBB4_272
.LBB4_269:                              ;   in Loop: Header=BB4_272 Depth=1
	s_or_b64 exec, exec, s[14:15]
	v_readfirstlane_b32 s14, v3
	s_cmp_eq_u32 s14, 0
	s_cbranch_scc1 .LBB4_271
; %bb.270:                              ;   in Loop: Header=BB4_272 Depth=1
	s_sleep 1
	s_cbranch_execnz .LBB4_272
	s_branch .LBB4_274
.LBB4_271:
	s_branch .LBB4_274
.LBB4_272:                              ; =>This Inner Loop Header: Depth=1
	v_mov_b32_e32 v3, 1
	s_and_saveexec_b64 s[14:15], s[0:1]
	s_cbranch_execz .LBB4_269
; %bb.273:                              ;   in Loop: Header=BB4_272 Depth=1
	global_load_dword v3, v[0:1], off offset:20 glc
	s_waitcnt vmcnt(0)
	buffer_wbinvl1_vol
	v_and_b32_e32 v3, 1, v3
	s_branch .LBB4_269
.LBB4_274:
	global_load_dwordx2 v[5:6], v[9:10], off
	s_and_saveexec_b64 s[14:15], s[0:1]
	s_cbranch_execz .LBB4_277
; %bb.275:
	v_mov_b32_e32 v3, 0
	global_load_dwordx2 v[0:1], v3, s[8:9] offset:40
	global_load_dwordx2 v[11:12], v3, s[8:9] offset:24 glc
	global_load_dwordx2 v[7:8], v3, s[8:9]
	s_waitcnt vmcnt(2)
	v_readfirstlane_b32 s16, v0
	v_readfirstlane_b32 s17, v1
	s_add_u32 s18, s16, 1
	s_addc_u32 s19, s17, 0
	s_add_u32 s0, s18, s12
	s_addc_u32 s1, s19, s13
	s_cmp_eq_u64 s[0:1], 0
	s_cselect_b32 s1, s19, s1
	s_cselect_b32 s0, s18, s0
	s_and_b64 s[12:13], s[0:1], s[16:17]
	s_mul_i32 s13, s13, 24
	s_mul_hi_u32 s16, s12, 24
	s_mul_i32 s12, s12, 24
	s_add_i32 s13, s16, s13
	v_mov_b32_e32 v1, s13
	s_waitcnt vmcnt(0)
	v_add_co_u32_e32 v0, vcc, s12, v7
	v_addc_co_u32_e32 v1, vcc, v8, v1, vcc
	v_mov_b32_e32 v9, s0
	global_store_dwordx2 v[0:1], v[11:12], off
	v_mov_b32_e32 v10, s1
	s_waitcnt vmcnt(0)
	global_atomic_cmpswap_x2 v[9:10], v3, v[9:12], s[8:9] offset:24 glc
	s_mov_b64 s[12:13], 0
	s_waitcnt vmcnt(0)
	v_cmp_ne_u64_e32 vcc, v[9:10], v[11:12]
	s_and_b64 exec, exec, vcc
	s_cbranch_execz .LBB4_277
.LBB4_276:                              ; =>This Inner Loop Header: Depth=1
	s_sleep 1
	global_store_dwordx2 v[0:1], v[9:10], off
	v_mov_b32_e32 v7, s0
	v_mov_b32_e32 v8, s1
	s_waitcnt vmcnt(0)
	global_atomic_cmpswap_x2 v[7:8], v3, v[7:10], s[8:9] offset:24 glc
	s_waitcnt vmcnt(0)
	v_cmp_eq_u64_e32 vcc, v[7:8], v[9:10]
	v_mov_b32_e32 v10, v8
	s_or_b64 s[12:13], vcc, s[12:13]
	v_mov_b32_e32 v9, v7
	s_andn2_b64 exec, exec, s[12:13]
	s_cbranch_execnz .LBB4_276
.LBB4_277:
	s_or_b64 exec, exec, s[14:15]
.LBB4_278:
	v_readfirstlane_b32 s0, v32
	v_mov_b32_e32 v0, 0
	v_mov_b32_e32 v1, 0
	v_cmp_eq_u32_e64 s[0:1], s0, v32
	s_and_saveexec_b64 s[12:13], s[0:1]
	s_cbranch_execz .LBB4_284
; %bb.279:
	s_waitcnt vmcnt(0)
	v_mov_b32_e32 v3, 0
	global_load_dwordx2 v[9:10], v3, s[8:9] offset:24 glc
	s_waitcnt vmcnt(0)
	buffer_wbinvl1_vol
	global_load_dwordx2 v[0:1], v3, s[8:9] offset:40
	global_load_dwordx2 v[7:8], v3, s[8:9]
	s_waitcnt vmcnt(1)
	v_and_b32_e32 v0, v0, v9
	v_and_b32_e32 v1, v1, v10
	v_mul_lo_u32 v1, v1, 24
	v_mul_hi_u32 v4, v0, 24
	v_mul_lo_u32 v0, v0, 24
	v_add_u32_e32 v1, v4, v1
	s_waitcnt vmcnt(0)
	v_add_co_u32_e32 v0, vcc, v7, v0
	v_addc_co_u32_e32 v1, vcc, v8, v1, vcc
	global_load_dwordx2 v[7:8], v[0:1], off glc
	s_waitcnt vmcnt(0)
	global_atomic_cmpswap_x2 v[0:1], v3, v[7:10], s[8:9] offset:24 glc
	s_waitcnt vmcnt(0)
	buffer_wbinvl1_vol
	v_cmp_ne_u64_e32 vcc, v[0:1], v[9:10]
	s_and_saveexec_b64 s[14:15], vcc
	s_cbranch_execz .LBB4_283
; %bb.280:
	s_mov_b64 s[16:17], 0
.LBB4_281:                              ; =>This Inner Loop Header: Depth=1
	s_sleep 1
	global_load_dwordx2 v[7:8], v3, s[8:9] offset:40
	global_load_dwordx2 v[11:12], v3, s[8:9]
	v_mov_b32_e32 v10, v1
	v_mov_b32_e32 v9, v0
	s_waitcnt vmcnt(1)
	v_and_b32_e32 v0, v7, v9
	s_waitcnt vmcnt(0)
	v_mad_u64_u32 v[0:1], s[18:19], v0, 24, v[11:12]
	v_and_b32_e32 v4, v8, v10
	v_mad_u64_u32 v[7:8], s[18:19], v4, 24, v[1:2]
	v_mov_b32_e32 v1, v7
	global_load_dwordx2 v[7:8], v[0:1], off glc
	s_waitcnt vmcnt(0)
	global_atomic_cmpswap_x2 v[0:1], v3, v[7:10], s[8:9] offset:24 glc
	s_waitcnt vmcnt(0)
	buffer_wbinvl1_vol
	v_cmp_eq_u64_e32 vcc, v[0:1], v[9:10]
	s_or_b64 s[16:17], vcc, s[16:17]
	s_andn2_b64 exec, exec, s[16:17]
	s_cbranch_execnz .LBB4_281
; %bb.282:
	s_or_b64 exec, exec, s[16:17]
.LBB4_283:
	s_or_b64 exec, exec, s[14:15]
.LBB4_284:
	s_or_b64 exec, exec, s[12:13]
	v_mov_b32_e32 v8, 0
	global_load_dwordx2 v[3:4], v8, s[8:9] offset:40
	global_load_dwordx4 v[9:12], v8, s[8:9]
	v_readfirstlane_b32 s13, v1
	v_readfirstlane_b32 s12, v0
	s_mov_b64 s[14:15], exec
	s_waitcnt vmcnt(1)
	v_readfirstlane_b32 s16, v3
	v_readfirstlane_b32 s17, v4
	s_and_b64 s[16:17], s[16:17], s[12:13]
	s_mul_i32 s18, s17, 24
	s_mul_hi_u32 s19, s16, 24
	s_mul_i32 s20, s16, 24
	s_add_i32 s18, s19, s18
	v_mov_b32_e32 v1, s18
	s_waitcnt vmcnt(0)
	v_add_co_u32_e32 v0, vcc, s20, v9
	v_addc_co_u32_e32 v1, vcc, v10, v1, vcc
	s_and_saveexec_b64 s[18:19], s[0:1]
	s_cbranch_execz .LBB4_286
; %bb.285:
	v_mov_b32_e32 v13, s14
	v_mov_b32_e32 v14, s15
	;; [unrolled: 1-line block ×4, first 2 shown]
	global_store_dwordx4 v[0:1], v[13:16], off offset:8
.LBB4_286:
	s_or_b64 exec, exec, s[18:19]
	s_lshl_b64 s[14:15], s[16:17], 12
	v_mov_b32_e32 v3, s15
	v_add_co_u32_e32 v4, vcc, s14, v11
	v_addc_co_u32_e32 v3, vcc, v12, v3, vcc
	s_movk_i32 s14, 0xff1f
	s_bcnt1_i32_b64 s10, s[10:11]
	v_and_or_b32 v5, v5, s14, 32
	s_mov_b32 s16, 0
	v_add_co_u32_e32 v11, vcc, v4, v31
	v_mov_b32_e32 v7, s10
	v_readfirstlane_b32 s10, v4
	v_readfirstlane_b32 s11, v3
	v_addc_co_u32_e32 v12, vcc, 0, v3, vcc
	s_mov_b32 s17, s16
	s_mov_b32 s18, s16
	;; [unrolled: 1-line block ×3, first 2 shown]
	s_nop 0
	global_store_dwordx4 v31, v[5:8], s[10:11]
	v_mov_b32_e32 v3, s16
	v_mov_b32_e32 v4, s17
	v_mov_b32_e32 v5, s18
	v_mov_b32_e32 v6, s19
	global_store_dwordx4 v31, v[3:6], s[10:11] offset:16
	global_store_dwordx4 v31, v[3:6], s[10:11] offset:32
	;; [unrolled: 1-line block ×3, first 2 shown]
	s_and_saveexec_b64 s[10:11], s[0:1]
	s_cbranch_execz .LBB4_294
; %bb.287:
	v_mov_b32_e32 v13, 0
	global_load_dwordx2 v[16:17], v13, s[8:9] offset:32 glc
	global_load_dwordx2 v[3:4], v13, s[8:9] offset:40
	v_mov_b32_e32 v14, s12
	v_mov_b32_e32 v15, s13
	s_waitcnt vmcnt(0)
	v_readfirstlane_b32 s14, v3
	v_readfirstlane_b32 s15, v4
	s_and_b64 s[14:15], s[14:15], s[12:13]
	s_mul_i32 s15, s15, 24
	s_mul_hi_u32 s16, s14, 24
	s_mul_i32 s14, s14, 24
	s_add_i32 s15, s16, s15
	v_mov_b32_e32 v3, s15
	v_add_co_u32_e32 v7, vcc, s14, v9
	v_addc_co_u32_e32 v8, vcc, v10, v3, vcc
	global_store_dwordx2 v[7:8], v[16:17], off
	s_waitcnt vmcnt(0)
	global_atomic_cmpswap_x2 v[5:6], v13, v[14:17], s[8:9] offset:32 glc
	s_waitcnt vmcnt(0)
	v_cmp_ne_u64_e32 vcc, v[5:6], v[16:17]
	s_and_saveexec_b64 s[14:15], vcc
	s_cbranch_execz .LBB4_290
; %bb.288:
	s_mov_b64 s[16:17], 0
.LBB4_289:                              ; =>This Inner Loop Header: Depth=1
	s_sleep 1
	global_store_dwordx2 v[7:8], v[5:6], off
	v_mov_b32_e32 v3, s12
	v_mov_b32_e32 v4, s13
	s_waitcnt vmcnt(0)
	global_atomic_cmpswap_x2 v[3:4], v13, v[3:6], s[8:9] offset:32 glc
	s_waitcnt vmcnt(0)
	v_cmp_eq_u64_e32 vcc, v[3:4], v[5:6]
	v_mov_b32_e32 v6, v4
	s_or_b64 s[16:17], vcc, s[16:17]
	v_mov_b32_e32 v5, v3
	s_andn2_b64 exec, exec, s[16:17]
	s_cbranch_execnz .LBB4_289
.LBB4_290:
	s_or_b64 exec, exec, s[14:15]
	v_mov_b32_e32 v6, 0
	global_load_dwordx2 v[3:4], v6, s[8:9] offset:16
	s_mov_b64 s[14:15], exec
	v_mbcnt_lo_u32_b32 v5, s14, 0
	v_mbcnt_hi_u32_b32 v5, s15, v5
	v_cmp_eq_u32_e32 vcc, 0, v5
	s_and_saveexec_b64 s[16:17], vcc
	s_cbranch_execz .LBB4_292
; %bb.291:
	s_bcnt1_i32_b64 s14, s[14:15]
	v_mov_b32_e32 v5, s14
	s_waitcnt vmcnt(0)
	global_atomic_add_x2 v[3:4], v[5:6], off offset:8
.LBB4_292:
	s_or_b64 exec, exec, s[16:17]
	s_waitcnt vmcnt(0)
	global_load_dwordx2 v[5:6], v[3:4], off offset:16
	s_waitcnt vmcnt(0)
	v_cmp_eq_u64_e32 vcc, 0, v[5:6]
	s_cbranch_vccnz .LBB4_294
; %bb.293:
	global_load_dword v3, v[3:4], off offset:24
	v_mov_b32_e32 v4, 0
	s_waitcnt vmcnt(0)
	v_readfirstlane_b32 s14, v3
	s_and_b32 m0, s14, 0xffffff
	global_store_dwordx2 v[5:6], v[3:4], off
	s_sendmsg sendmsg(MSG_INTERRUPT)
.LBB4_294:
	s_or_b64 exec, exec, s[10:11]
	s_branch .LBB4_298
.LBB4_295:                              ;   in Loop: Header=BB4_298 Depth=1
	s_or_b64 exec, exec, s[10:11]
	v_readfirstlane_b32 s10, v3
	s_cmp_eq_u32 s10, 0
	s_cbranch_scc1 .LBB4_297
; %bb.296:                              ;   in Loop: Header=BB4_298 Depth=1
	s_sleep 1
	s_cbranch_execnz .LBB4_298
	s_branch .LBB4_300
.LBB4_297:
	s_branch .LBB4_300
.LBB4_298:                              ; =>This Inner Loop Header: Depth=1
	v_mov_b32_e32 v3, 1
	s_and_saveexec_b64 s[10:11], s[0:1]
	s_cbranch_execz .LBB4_295
; %bb.299:                              ;   in Loop: Header=BB4_298 Depth=1
	global_load_dword v3, v[0:1], off offset:20 glc
	s_waitcnt vmcnt(0)
	buffer_wbinvl1_vol
	v_and_b32_e32 v3, 1, v3
	s_branch .LBB4_295
.LBB4_300:
	global_load_dwordx2 v[0:1], v[11:12], off
	s_and_saveexec_b64 s[10:11], s[0:1]
	s_cbranch_execz .LBB4_303
; %bb.301:
	v_mov_b32_e32 v9, 0
	global_load_dwordx2 v[3:4], v9, s[8:9] offset:40
	global_load_dwordx2 v[12:13], v9, s[8:9] offset:24 glc
	global_load_dwordx2 v[5:6], v9, s[8:9]
	s_waitcnt vmcnt(2)
	v_readfirstlane_b32 s14, v3
	v_readfirstlane_b32 s15, v4
	s_add_u32 s16, s14, 1
	s_addc_u32 s17, s15, 0
	s_add_u32 s0, s16, s12
	s_addc_u32 s1, s17, s13
	s_cmp_eq_u64 s[0:1], 0
	s_cselect_b32 s1, s17, s1
	s_cselect_b32 s0, s16, s0
	s_and_b64 s[12:13], s[0:1], s[14:15]
	s_mul_i32 s13, s13, 24
	s_mul_hi_u32 s14, s12, 24
	s_mul_i32 s12, s12, 24
	s_add_i32 s13, s14, s13
	v_mov_b32_e32 v3, s13
	s_waitcnt vmcnt(0)
	v_add_co_u32_e32 v7, vcc, s12, v5
	v_addc_co_u32_e32 v8, vcc, v6, v3, vcc
	v_mov_b32_e32 v10, s0
	global_store_dwordx2 v[7:8], v[12:13], off
	v_mov_b32_e32 v11, s1
	s_waitcnt vmcnt(0)
	global_atomic_cmpswap_x2 v[5:6], v9, v[10:13], s[8:9] offset:24 glc
	s_mov_b64 s[12:13], 0
	s_waitcnt vmcnt(0)
	v_cmp_ne_u64_e32 vcc, v[5:6], v[12:13]
	s_and_b64 exec, exec, vcc
	s_cbranch_execz .LBB4_303
.LBB4_302:                              ; =>This Inner Loop Header: Depth=1
	s_sleep 1
	global_store_dwordx2 v[7:8], v[5:6], off
	v_mov_b32_e32 v3, s0
	v_mov_b32_e32 v4, s1
	s_waitcnt vmcnt(0)
	global_atomic_cmpswap_x2 v[3:4], v9, v[3:6], s[8:9] offset:24 glc
	s_waitcnt vmcnt(0)
	v_cmp_eq_u64_e32 vcc, v[3:4], v[5:6]
	v_mov_b32_e32 v6, v4
	s_or_b64 s[12:13], vcc, s[12:13]
	v_mov_b32_e32 v5, v3
	s_andn2_b64 exec, exec, s[12:13]
	s_cbranch_execnz .LBB4_302
.LBB4_303:
	s_or_b64 exec, exec, s[10:11]
	v_readfirstlane_b32 s0, v32
	v_mov_b32_e32 v8, 0
	v_mov_b32_e32 v9, 0
	v_cmp_eq_u32_e64 s[0:1], s0, v32
	s_and_saveexec_b64 s[10:11], s[0:1]
	s_cbranch_execz .LBB4_309
; %bb.304:
	v_mov_b32_e32 v3, 0
	global_load_dwordx2 v[6:7], v3, s[8:9] offset:24 glc
	s_waitcnt vmcnt(0)
	buffer_wbinvl1_vol
	global_load_dwordx2 v[4:5], v3, s[8:9] offset:40
	global_load_dwordx2 v[8:9], v3, s[8:9]
	s_waitcnt vmcnt(1)
	v_and_b32_e32 v4, v4, v6
	v_and_b32_e32 v5, v5, v7
	v_mul_lo_u32 v5, v5, 24
	v_mul_hi_u32 v10, v4, 24
	v_mul_lo_u32 v4, v4, 24
	v_add_u32_e32 v5, v10, v5
	s_waitcnt vmcnt(0)
	v_add_co_u32_e32 v4, vcc, v8, v4
	v_addc_co_u32_e32 v5, vcc, v9, v5, vcc
	global_load_dwordx2 v[4:5], v[4:5], off glc
	s_waitcnt vmcnt(0)
	global_atomic_cmpswap_x2 v[8:9], v3, v[4:7], s[8:9] offset:24 glc
	s_waitcnt vmcnt(0)
	buffer_wbinvl1_vol
	v_cmp_ne_u64_e32 vcc, v[8:9], v[6:7]
	s_and_saveexec_b64 s[12:13], vcc
	s_cbranch_execz .LBB4_308
; %bb.305:
	s_mov_b64 s[14:15], 0
.LBB4_306:                              ; =>This Inner Loop Header: Depth=1
	s_sleep 1
	global_load_dwordx2 v[4:5], v3, s[8:9] offset:40
	global_load_dwordx2 v[10:11], v3, s[8:9]
	v_mov_b32_e32 v6, v8
	v_mov_b32_e32 v7, v9
	s_waitcnt vmcnt(1)
	v_and_b32_e32 v4, v4, v6
	s_waitcnt vmcnt(0)
	v_mad_u64_u32 v[8:9], s[16:17], v4, 24, v[10:11]
	v_and_b32_e32 v5, v5, v7
	v_mov_b32_e32 v4, v9
	v_mad_u64_u32 v[4:5], s[16:17], v5, 24, v[4:5]
	v_mov_b32_e32 v9, v4
	global_load_dwordx2 v[4:5], v[8:9], off glc
	s_waitcnt vmcnt(0)
	global_atomic_cmpswap_x2 v[8:9], v3, v[4:7], s[8:9] offset:24 glc
	s_waitcnt vmcnt(0)
	buffer_wbinvl1_vol
	v_cmp_eq_u64_e32 vcc, v[8:9], v[6:7]
	s_or_b64 s[14:15], vcc, s[14:15]
	s_andn2_b64 exec, exec, s[14:15]
	s_cbranch_execnz .LBB4_306
; %bb.307:
	s_or_b64 exec, exec, s[14:15]
.LBB4_308:
	s_or_b64 exec, exec, s[12:13]
.LBB4_309:
	s_or_b64 exec, exec, s[10:11]
	v_mov_b32_e32 v3, 0
	global_load_dwordx2 v[10:11], v3, s[8:9] offset:40
	global_load_dwordx4 v[4:7], v3, s[8:9]
	v_readfirstlane_b32 s11, v9
	v_readfirstlane_b32 s10, v8
	s_mov_b64 s[12:13], exec
	s_waitcnt vmcnt(1)
	v_readfirstlane_b32 s14, v10
	v_readfirstlane_b32 s15, v11
	s_and_b64 s[14:15], s[14:15], s[10:11]
	s_mul_i32 s16, s15, 24
	s_mul_hi_u32 s17, s14, 24
	s_mul_i32 s18, s14, 24
	s_add_i32 s16, s17, s16
	v_mov_b32_e32 v9, s16
	s_waitcnt vmcnt(0)
	v_add_co_u32_e32 v8, vcc, s18, v4
	v_addc_co_u32_e32 v9, vcc, v5, v9, vcc
	s_and_saveexec_b64 s[16:17], s[0:1]
	s_cbranch_execz .LBB4_311
; %bb.310:
	v_mov_b32_e32 v10, s12
	v_mov_b32_e32 v11, s13
	;; [unrolled: 1-line block ×4, first 2 shown]
	global_store_dwordx4 v[8:9], v[10:13], off offset:8
.LBB4_311:
	s_or_b64 exec, exec, s[16:17]
	s_lshl_b64 s[12:13], s[14:15], 12
	v_mov_b32_e32 v10, s13
	v_add_co_u32_e32 v6, vcc, s12, v6
	v_addc_co_u32_e32 v7, vcc, v7, v10, vcc
	s_movk_i32 s12, 0xff1d
	v_and_or_b32 v0, v0, s12, 34
	v_readfirstlane_b32 s16, v6
	v_readfirstlane_b32 s17, v7
	s_mov_b32 s12, 0
	s_mov_b32 s13, s12
	;; [unrolled: 1-line block ×4, first 2 shown]
	s_nop 0
	global_store_dwordx4 v31, v[0:3], s[16:17]
	s_nop 0
	v_mov_b32_e32 v0, s12
	v_mov_b32_e32 v1, s13
	;; [unrolled: 1-line block ×4, first 2 shown]
	global_store_dwordx4 v31, v[0:3], s[16:17] offset:16
	global_store_dwordx4 v31, v[0:3], s[16:17] offset:32
	;; [unrolled: 1-line block ×3, first 2 shown]
	s_and_saveexec_b64 s[12:13], s[0:1]
	s_cbranch_execz .LBB4_319
; %bb.312:
	v_mov_b32_e32 v6, 0
	global_load_dwordx2 v[12:13], v6, s[8:9] offset:32 glc
	global_load_dwordx2 v[0:1], v6, s[8:9] offset:40
	v_mov_b32_e32 v10, s10
	v_mov_b32_e32 v11, s11
	s_waitcnt vmcnt(0)
	v_readfirstlane_b32 s14, v0
	v_readfirstlane_b32 s15, v1
	s_and_b64 s[14:15], s[14:15], s[10:11]
	s_mul_i32 s15, s15, 24
	s_mul_hi_u32 s16, s14, 24
	s_mul_i32 s14, s14, 24
	s_add_i32 s15, s16, s15
	v_mov_b32_e32 v0, s15
	v_add_co_u32_e32 v4, vcc, s14, v4
	v_addc_co_u32_e32 v5, vcc, v5, v0, vcc
	global_store_dwordx2 v[4:5], v[12:13], off
	s_waitcnt vmcnt(0)
	global_atomic_cmpswap_x2 v[2:3], v6, v[10:13], s[8:9] offset:32 glc
	s_waitcnt vmcnt(0)
	v_cmp_ne_u64_e32 vcc, v[2:3], v[12:13]
	s_and_saveexec_b64 s[14:15], vcc
	s_cbranch_execz .LBB4_315
; %bb.313:
	s_mov_b64 s[16:17], 0
.LBB4_314:                              ; =>This Inner Loop Header: Depth=1
	s_sleep 1
	global_store_dwordx2 v[4:5], v[2:3], off
	v_mov_b32_e32 v0, s10
	v_mov_b32_e32 v1, s11
	s_waitcnt vmcnt(0)
	global_atomic_cmpswap_x2 v[0:1], v6, v[0:3], s[8:9] offset:32 glc
	s_waitcnt vmcnt(0)
	v_cmp_eq_u64_e32 vcc, v[0:1], v[2:3]
	v_mov_b32_e32 v3, v1
	s_or_b64 s[16:17], vcc, s[16:17]
	v_mov_b32_e32 v2, v0
	s_andn2_b64 exec, exec, s[16:17]
	s_cbranch_execnz .LBB4_314
.LBB4_315:
	s_or_b64 exec, exec, s[14:15]
	v_mov_b32_e32 v3, 0
	global_load_dwordx2 v[0:1], v3, s[8:9] offset:16
	s_mov_b64 s[14:15], exec
	v_mbcnt_lo_u32_b32 v2, s14, 0
	v_mbcnt_hi_u32_b32 v2, s15, v2
	v_cmp_eq_u32_e32 vcc, 0, v2
	s_and_saveexec_b64 s[16:17], vcc
	s_cbranch_execz .LBB4_317
; %bb.316:
	s_bcnt1_i32_b64 s14, s[14:15]
	v_mov_b32_e32 v2, s14
	s_waitcnt vmcnt(0)
	global_atomic_add_x2 v[0:1], v[2:3], off offset:8
.LBB4_317:
	s_or_b64 exec, exec, s[16:17]
	s_waitcnt vmcnt(0)
	global_load_dwordx2 v[2:3], v[0:1], off offset:16
	s_waitcnt vmcnt(0)
	v_cmp_eq_u64_e32 vcc, 0, v[2:3]
	s_cbranch_vccnz .LBB4_319
; %bb.318:
	global_load_dword v0, v[0:1], off offset:24
	v_mov_b32_e32 v1, 0
	s_waitcnt vmcnt(0)
	v_readfirstlane_b32 s14, v0
	s_and_b32 m0, s14, 0xffffff
	global_store_dwordx2 v[2:3], v[0:1], off
	s_sendmsg sendmsg(MSG_INTERRUPT)
.LBB4_319:
	s_or_b64 exec, exec, s[12:13]
	s_branch .LBB4_323
.LBB4_320:                              ;   in Loop: Header=BB4_323 Depth=1
	s_or_b64 exec, exec, s[12:13]
	v_readfirstlane_b32 s12, v0
	s_cmp_eq_u32 s12, 0
	s_cbranch_scc1 .LBB4_322
; %bb.321:                              ;   in Loop: Header=BB4_323 Depth=1
	s_sleep 1
	s_cbranch_execnz .LBB4_323
	s_branch .LBB4_325
.LBB4_322:
	s_branch .LBB4_325
.LBB4_323:                              ; =>This Inner Loop Header: Depth=1
	v_mov_b32_e32 v0, 1
	s_and_saveexec_b64 s[12:13], s[0:1]
	s_cbranch_execz .LBB4_320
; %bb.324:                              ;   in Loop: Header=BB4_323 Depth=1
	global_load_dword v0, v[8:9], off offset:20 glc
	s_waitcnt vmcnt(0)
	buffer_wbinvl1_vol
	v_and_b32_e32 v0, 1, v0
	s_branch .LBB4_320
.LBB4_325:
	s_and_b64 exec, exec, s[0:1]
	s_cbranch_execz .LBB4_328
; %bb.326:
	v_mov_b32_e32 v6, 0
	global_load_dwordx2 v[0:1], v6, s[8:9] offset:40
	global_load_dwordx2 v[9:10], v6, s[8:9] offset:24 glc
	global_load_dwordx2 v[2:3], v6, s[8:9]
	s_waitcnt vmcnt(2)
	v_readfirstlane_b32 s12, v0
	v_readfirstlane_b32 s13, v1
	s_add_u32 s14, s12, 1
	s_addc_u32 s15, s13, 0
	s_add_u32 s0, s14, s10
	s_addc_u32 s1, s15, s11
	s_cmp_eq_u64 s[0:1], 0
	s_cselect_b32 s1, s15, s1
	s_cselect_b32 s0, s14, s0
	s_and_b64 s[10:11], s[0:1], s[12:13]
	s_mul_i32 s11, s11, 24
	s_mul_hi_u32 s12, s10, 24
	s_mul_i32 s10, s10, 24
	s_add_i32 s11, s12, s11
	v_mov_b32_e32 v0, s11
	s_waitcnt vmcnt(0)
	v_add_co_u32_e32 v4, vcc, s10, v2
	v_addc_co_u32_e32 v5, vcc, v3, v0, vcc
	v_mov_b32_e32 v7, s0
	global_store_dwordx2 v[4:5], v[9:10], off
	v_mov_b32_e32 v8, s1
	s_waitcnt vmcnt(0)
	global_atomic_cmpswap_x2 v[2:3], v6, v[7:10], s[8:9] offset:24 glc
	s_mov_b64 s[10:11], 0
	s_waitcnt vmcnt(0)
	v_cmp_ne_u64_e32 vcc, v[2:3], v[9:10]
	s_and_b64 exec, exec, vcc
	s_cbranch_execz .LBB4_328
.LBB4_327:                              ; =>This Inner Loop Header: Depth=1
	s_sleep 1
	global_store_dwordx2 v[4:5], v[2:3], off
	v_mov_b32_e32 v0, s0
	v_mov_b32_e32 v1, s1
	s_waitcnt vmcnt(0)
	global_atomic_cmpswap_x2 v[0:1], v6, v[0:3], s[8:9] offset:24 glc
	s_waitcnt vmcnt(0)
	v_cmp_eq_u64_e32 vcc, v[0:1], v[2:3]
	v_mov_b32_e32 v3, v1
	s_or_b64 s[10:11], vcc, s[10:11]
	v_mov_b32_e32 v2, v0
	s_andn2_b64 exec, exec, s[10:11]
	s_cbranch_execnz .LBB4_327
.LBB4_328:
	s_or_b64 exec, exec, s[6:7]
                                        ; implicit-def: $vgpr2_vgpr3
.LBB4_329:
	s_andn2_saveexec_b64 s[0:1], s[2:3]
	s_cbranch_execz .LBB4_519
; %bb.330:
	s_mov_b64 s[6:7], exec
	v_mbcnt_lo_u32_b32 v0, s6, 0
	v_mbcnt_hi_u32_b32 v0, s7, v0
	v_cmp_eq_u32_e32 vcc, 0, v0
	s_and_saveexec_b64 s[0:1], vcc
	s_cbranch_execz .LBB4_519
; %bb.331:
	s_load_dwordx2 s[2:3], s[4:5], 0x50
	v_mbcnt_lo_u32_b32 v0, -1, 0
	v_mbcnt_hi_u32_b32 v32, -1, v0
	v_readfirstlane_b32 s0, v32
	v_mov_b32_e32 v0, 0
	v_mov_b32_e32 v1, 0
	v_cmp_eq_u32_e64 s[0:1], s0, v32
	s_and_saveexec_b64 s[4:5], s[0:1]
	s_cbranch_execz .LBB4_337
; %bb.332:
	v_mov_b32_e32 v3, 0
	s_waitcnt lgkmcnt(0)
	global_load_dwordx2 v[6:7], v3, s[2:3] offset:24 glc
	s_waitcnt vmcnt(0)
	buffer_wbinvl1_vol
	global_load_dwordx2 v[0:1], v3, s[2:3] offset:40
	global_load_dwordx2 v[4:5], v3, s[2:3]
	s_waitcnt vmcnt(1)
	v_and_b32_e32 v0, v0, v6
	v_and_b32_e32 v1, v1, v7
	v_mul_lo_u32 v1, v1, 24
	v_mul_hi_u32 v8, v0, 24
	v_mul_lo_u32 v0, v0, 24
	v_add_u32_e32 v1, v8, v1
	s_waitcnt vmcnt(0)
	v_add_co_u32_e32 v0, vcc, v4, v0
	v_addc_co_u32_e32 v1, vcc, v5, v1, vcc
	global_load_dwordx2 v[4:5], v[0:1], off glc
	s_waitcnt vmcnt(0)
	global_atomic_cmpswap_x2 v[0:1], v3, v[4:7], s[2:3] offset:24 glc
	s_waitcnt vmcnt(0)
	buffer_wbinvl1_vol
	v_cmp_ne_u64_e32 vcc, v[0:1], v[6:7]
	s_and_saveexec_b64 s[8:9], vcc
	s_cbranch_execz .LBB4_336
; %bb.333:
	s_mov_b64 s[10:11], 0
.LBB4_334:                              ; =>This Inner Loop Header: Depth=1
	s_sleep 1
	global_load_dwordx2 v[4:5], v3, s[2:3] offset:40
	global_load_dwordx2 v[8:9], v3, s[2:3]
	v_mov_b32_e32 v7, v1
	v_mov_b32_e32 v6, v0
	s_waitcnt vmcnt(1)
	v_and_b32_e32 v0, v4, v6
	s_waitcnt vmcnt(0)
	v_mad_u64_u32 v[0:1], s[12:13], v0, 24, v[8:9]
	v_and_b32_e32 v4, v5, v7
	v_mad_u64_u32 v[4:5], s[12:13], v4, 24, v[1:2]
	v_mov_b32_e32 v1, v4
	global_load_dwordx2 v[4:5], v[0:1], off glc
	s_waitcnt vmcnt(0)
	global_atomic_cmpswap_x2 v[0:1], v3, v[4:7], s[2:3] offset:24 glc
	s_waitcnt vmcnt(0)
	buffer_wbinvl1_vol
	v_cmp_eq_u64_e32 vcc, v[0:1], v[6:7]
	s_or_b64 s[10:11], vcc, s[10:11]
	s_andn2_b64 exec, exec, s[10:11]
	s_cbranch_execnz .LBB4_334
; %bb.335:
	s_or_b64 exec, exec, s[10:11]
.LBB4_336:
	s_or_b64 exec, exec, s[8:9]
.LBB4_337:
	s_or_b64 exec, exec, s[4:5]
	v_mov_b32_e32 v7, 0
	s_waitcnt lgkmcnt(0)
	global_load_dwordx2 v[8:9], v7, s[2:3] offset:40
	global_load_dwordx4 v[3:6], v7, s[2:3]
	v_readfirstlane_b32 s5, v1
	v_readfirstlane_b32 s4, v0
	s_mov_b64 s[8:9], exec
	s_waitcnt vmcnt(1)
	v_readfirstlane_b32 s10, v8
	v_readfirstlane_b32 s11, v9
	s_and_b64 s[10:11], s[10:11], s[4:5]
	s_mul_i32 s12, s11, 24
	s_mul_hi_u32 s13, s10, 24
	s_mul_i32 s14, s10, 24
	s_add_i32 s12, s13, s12
	v_mov_b32_e32 v1, s12
	s_waitcnt vmcnt(0)
	v_add_co_u32_e32 v0, vcc, s14, v3
	v_addc_co_u32_e32 v1, vcc, v4, v1, vcc
	s_and_saveexec_b64 s[12:13], s[0:1]
	s_cbranch_execz .LBB4_339
; %bb.338:
	v_mov_b32_e32 v8, s8
	v_mov_b32_e32 v9, s9
	v_mov_b32_e32 v10, 2
	v_mov_b32_e32 v11, 1
	global_store_dwordx4 v[0:1], v[8:11], off offset:8
.LBB4_339:
	s_or_b64 exec, exec, s[12:13]
	s_lshl_b64 s[8:9], s[10:11], 12
	v_mov_b32_e32 v8, s9
	v_add_co_u32_e32 v5, vcc, s8, v5
	v_addc_co_u32_e32 v12, vcc, v6, v8, vcc
	v_lshlrev_b32_e32 v31, 6, v32
	s_mov_b32 s8, 0
	v_mov_b32_e32 v6, 33
	v_mov_b32_e32 v8, v7
	v_mov_b32_e32 v9, v7
	v_readfirstlane_b32 s12, v5
	v_readfirstlane_b32 s13, v12
	v_add_co_u32_e32 v10, vcc, v5, v31
	s_mov_b32 s9, s8
	s_mov_b32 s10, s8
	;; [unrolled: 1-line block ×3, first 2 shown]
	s_nop 0
	global_store_dwordx4 v31, v[6:9], s[12:13]
	v_mov_b32_e32 v5, s8
	v_addc_co_u32_e32 v11, vcc, 0, v12, vcc
	v_mov_b32_e32 v6, s9
	v_mov_b32_e32 v7, s10
	;; [unrolled: 1-line block ×3, first 2 shown]
	global_store_dwordx4 v31, v[5:8], s[12:13] offset:16
	global_store_dwordx4 v31, v[5:8], s[12:13] offset:32
	;; [unrolled: 1-line block ×3, first 2 shown]
	s_and_saveexec_b64 s[8:9], s[0:1]
	s_cbranch_execz .LBB4_347
; %bb.340:
	v_mov_b32_e32 v9, 0
	global_load_dwordx2 v[14:15], v9, s[2:3] offset:32 glc
	global_load_dwordx2 v[5:6], v9, s[2:3] offset:40
	v_mov_b32_e32 v12, s4
	v_mov_b32_e32 v13, s5
	s_waitcnt vmcnt(0)
	v_and_b32_e32 v5, s4, v5
	v_and_b32_e32 v6, s5, v6
	v_mul_lo_u32 v6, v6, 24
	v_mul_hi_u32 v7, v5, 24
	v_mul_lo_u32 v5, v5, 24
	v_add_u32_e32 v6, v7, v6
	v_add_co_u32_e32 v7, vcc, v3, v5
	v_addc_co_u32_e32 v8, vcc, v4, v6, vcc
	global_store_dwordx2 v[7:8], v[14:15], off
	s_waitcnt vmcnt(0)
	global_atomic_cmpswap_x2 v[5:6], v9, v[12:15], s[2:3] offset:32 glc
	s_waitcnt vmcnt(0)
	v_cmp_ne_u64_e32 vcc, v[5:6], v[14:15]
	s_and_saveexec_b64 s[10:11], vcc
	s_cbranch_execz .LBB4_343
; %bb.341:
	s_mov_b64 s[12:13], 0
.LBB4_342:                              ; =>This Inner Loop Header: Depth=1
	s_sleep 1
	global_store_dwordx2 v[7:8], v[5:6], off
	v_mov_b32_e32 v3, s4
	v_mov_b32_e32 v4, s5
	s_waitcnt vmcnt(0)
	global_atomic_cmpswap_x2 v[3:4], v9, v[3:6], s[2:3] offset:32 glc
	s_waitcnt vmcnt(0)
	v_cmp_eq_u64_e32 vcc, v[3:4], v[5:6]
	v_mov_b32_e32 v6, v4
	s_or_b64 s[12:13], vcc, s[12:13]
	v_mov_b32_e32 v5, v3
	s_andn2_b64 exec, exec, s[12:13]
	s_cbranch_execnz .LBB4_342
.LBB4_343:
	s_or_b64 exec, exec, s[10:11]
	v_mov_b32_e32 v6, 0
	global_load_dwordx2 v[3:4], v6, s[2:3] offset:16
	s_mov_b64 s[10:11], exec
	v_mbcnt_lo_u32_b32 v5, s10, 0
	v_mbcnt_hi_u32_b32 v5, s11, v5
	v_cmp_eq_u32_e32 vcc, 0, v5
	s_and_saveexec_b64 s[12:13], vcc
	s_cbranch_execz .LBB4_345
; %bb.344:
	s_bcnt1_i32_b64 s10, s[10:11]
	v_mov_b32_e32 v5, s10
	s_waitcnt vmcnt(0)
	global_atomic_add_x2 v[3:4], v[5:6], off offset:8
.LBB4_345:
	s_or_b64 exec, exec, s[12:13]
	s_waitcnt vmcnt(0)
	global_load_dwordx2 v[5:6], v[3:4], off offset:16
	s_waitcnt vmcnt(0)
	v_cmp_eq_u64_e32 vcc, 0, v[5:6]
	s_cbranch_vccnz .LBB4_347
; %bb.346:
	global_load_dword v3, v[3:4], off offset:24
	v_mov_b32_e32 v4, 0
	s_waitcnt vmcnt(0)
	v_readfirstlane_b32 s10, v3
	s_and_b32 m0, s10, 0xffffff
	global_store_dwordx2 v[5:6], v[3:4], off
	s_sendmsg sendmsg(MSG_INTERRUPT)
.LBB4_347:
	s_or_b64 exec, exec, s[8:9]
	s_branch .LBB4_351
.LBB4_348:                              ;   in Loop: Header=BB4_351 Depth=1
	s_or_b64 exec, exec, s[8:9]
	v_readfirstlane_b32 s8, v3
	s_cmp_eq_u32 s8, 0
	s_cbranch_scc1 .LBB4_350
; %bb.349:                              ;   in Loop: Header=BB4_351 Depth=1
	s_sleep 1
	s_cbranch_execnz .LBB4_351
	s_branch .LBB4_353
.LBB4_350:
	s_branch .LBB4_353
.LBB4_351:                              ; =>This Inner Loop Header: Depth=1
	v_mov_b32_e32 v3, 1
	s_and_saveexec_b64 s[8:9], s[0:1]
	s_cbranch_execz .LBB4_348
; %bb.352:                              ;   in Loop: Header=BB4_351 Depth=1
	global_load_dword v3, v[0:1], off offset:20 glc
	s_waitcnt vmcnt(0)
	buffer_wbinvl1_vol
	v_and_b32_e32 v3, 1, v3
	s_branch .LBB4_348
.LBB4_353:
	global_load_dwordx2 v[3:4], v[10:11], off
	s_and_saveexec_b64 s[8:9], s[0:1]
	s_cbranch_execz .LBB4_356
; %bb.354:
	v_mov_b32_e32 v9, 0
	global_load_dwordx2 v[0:1], v9, s[2:3] offset:40
	global_load_dwordx2 v[12:13], v9, s[2:3] offset:24 glc
	global_load_dwordx2 v[5:6], v9, s[2:3]
	s_waitcnt vmcnt(2)
	v_readfirstlane_b32 s10, v0
	v_readfirstlane_b32 s11, v1
	s_add_u32 s12, s10, 1
	s_addc_u32 s13, s11, 0
	s_add_u32 s0, s12, s4
	s_addc_u32 s1, s13, s5
	s_cmp_eq_u64 s[0:1], 0
	s_cselect_b32 s1, s13, s1
	s_cselect_b32 s0, s12, s0
	s_and_b64 s[4:5], s[0:1], s[10:11]
	s_mul_i32 s5, s5, 24
	s_mul_hi_u32 s10, s4, 24
	s_mul_i32 s4, s4, 24
	s_add_i32 s5, s10, s5
	v_mov_b32_e32 v1, s5
	s_waitcnt vmcnt(0)
	v_add_co_u32_e32 v0, vcc, s4, v5
	v_addc_co_u32_e32 v1, vcc, v6, v1, vcc
	v_mov_b32_e32 v10, s0
	global_store_dwordx2 v[0:1], v[12:13], off
	v_mov_b32_e32 v11, s1
	s_waitcnt vmcnt(0)
	global_atomic_cmpswap_x2 v[7:8], v9, v[10:13], s[2:3] offset:24 glc
	s_mov_b64 s[4:5], 0
	s_waitcnt vmcnt(0)
	v_cmp_ne_u64_e32 vcc, v[7:8], v[12:13]
	s_and_b64 exec, exec, vcc
	s_cbranch_execz .LBB4_356
.LBB4_355:                              ; =>This Inner Loop Header: Depth=1
	s_sleep 1
	global_store_dwordx2 v[0:1], v[7:8], off
	v_mov_b32_e32 v5, s0
	v_mov_b32_e32 v6, s1
	s_waitcnt vmcnt(0)
	global_atomic_cmpswap_x2 v[5:6], v9, v[5:8], s[2:3] offset:24 glc
	s_waitcnt vmcnt(0)
	v_cmp_eq_u64_e32 vcc, v[5:6], v[7:8]
	v_mov_b32_e32 v8, v6
	s_or_b64 s[4:5], vcc, s[4:5]
	v_mov_b32_e32 v7, v5
	s_andn2_b64 exec, exec, s[4:5]
	s_cbranch_execnz .LBB4_355
.LBB4_356:
	s_or_b64 exec, exec, s[8:9]
	s_getpc_b64 s[4:5]
	s_add_u32 s4, s4, .str.5@rel32@lo+4
	s_addc_u32 s5, s5, .str.5@rel32@hi+12
	s_cmp_lg_u64 s[4:5], 0
	s_cbranch_scc0 .LBB4_442
; %bb.357:
	v_mov_b32_e32 v1, 0
	s_waitcnt vmcnt(0)
	v_and_b32_e32 v5, -3, v3
	v_mov_b32_e32 v6, v4
	s_mov_b64 s[8:9], 0x59
	v_mov_b32_e32 v11, 2
	v_mov_b32_e32 v12, 1
	s_branch .LBB4_359
.LBB4_358:                              ;   in Loop: Header=BB4_359 Depth=1
	s_or_b64 exec, exec, s[14:15]
	s_sub_u32 s8, s8, s10
	s_subb_u32 s9, s9, s11
	s_add_u32 s4, s4, s10
	s_addc_u32 s5, s5, s11
	s_cmp_lg_u64 s[8:9], 0
	s_cbranch_scc0 .LBB4_441
.LBB4_359:                              ; =>This Loop Header: Depth=1
                                        ;     Child Loop BB4_362 Depth 2
                                        ;     Child Loop BB4_370 Depth 2
                                        ;     Child Loop BB4_378 Depth 2
                                        ;     Child Loop BB4_386 Depth 2
                                        ;     Child Loop BB4_394 Depth 2
                                        ;     Child Loop BB4_402 Depth 2
                                        ;     Child Loop BB4_410 Depth 2
                                        ;     Child Loop BB4_418 Depth 2
                                        ;     Child Loop BB4_426 Depth 2
                                        ;     Child Loop BB4_435 Depth 2
                                        ;     Child Loop BB4_440 Depth 2
	v_cmp_lt_u64_e64 s[0:1], s[8:9], 56
	v_cmp_gt_u64_e64 s[12:13], s[8:9], 7
	s_and_b64 s[0:1], s[0:1], exec
	s_cselect_b32 s11, s9, 0
	s_cselect_b32 s10, s8, 56
	s_add_u32 s0, s4, 8
	s_addc_u32 s1, s5, 0
	s_and_b64 vcc, exec, s[12:13]
	s_cbranch_vccnz .LBB4_363
; %bb.360:                              ;   in Loop: Header=BB4_359 Depth=1
	s_cmp_eq_u64 s[8:9], 0
	s_cbranch_scc1 .LBB4_364
; %bb.361:                              ;   in Loop: Header=BB4_359 Depth=1
	v_mov_b32_e32 v7, 0
	s_lshl_b64 s[0:1], s[10:11], 3
	s_mov_b64 s[12:13], 0
	v_mov_b32_e32 v8, 0
	s_mov_b64 s[14:15], s[4:5]
.LBB4_362:                              ;   Parent Loop BB4_359 Depth=1
                                        ; =>  This Inner Loop Header: Depth=2
	global_load_ubyte v0, v1, s[14:15]
	s_waitcnt vmcnt(0)
	v_and_b32_e32 v0, 0xffff, v0
	v_lshlrev_b64 v[9:10], s12, v[0:1]
	s_add_u32 s12, s12, 8
	s_addc_u32 s13, s13, 0
	s_add_u32 s14, s14, 1
	s_addc_u32 s15, s15, 0
	v_or_b32_e32 v7, v9, v7
	s_cmp_lg_u32 s0, s12
	v_or_b32_e32 v8, v10, v8
	s_cbranch_scc1 .LBB4_362
	s_branch .LBB4_365
.LBB4_363:                              ;   in Loop: Header=BB4_359 Depth=1
	s_mov_b32 s16, 0
	s_branch .LBB4_366
.LBB4_364:                              ;   in Loop: Header=BB4_359 Depth=1
	v_mov_b32_e32 v7, 0
	v_mov_b32_e32 v8, 0
.LBB4_365:                              ;   in Loop: Header=BB4_359 Depth=1
	s_mov_b64 s[0:1], s[4:5]
	s_mov_b32 s16, 0
	s_cbranch_execnz .LBB4_367
.LBB4_366:                              ;   in Loop: Header=BB4_359 Depth=1
	global_load_dwordx2 v[7:8], v1, s[4:5]
	s_add_i32 s16, s10, -8
.LBB4_367:                              ;   in Loop: Header=BB4_359 Depth=1
	s_add_u32 s12, s0, 8
	s_addc_u32 s13, s1, 0
	s_cmp_gt_u32 s16, 7
	s_cbranch_scc1 .LBB4_371
; %bb.368:                              ;   in Loop: Header=BB4_359 Depth=1
	s_cmp_eq_u32 s16, 0
	s_cbranch_scc1 .LBB4_372
; %bb.369:                              ;   in Loop: Header=BB4_359 Depth=1
	v_mov_b32_e32 v13, 0
	s_mov_b64 s[12:13], 0
	v_mov_b32_e32 v14, 0
	s_mov_b64 s[14:15], 0
.LBB4_370:                              ;   Parent Loop BB4_359 Depth=1
                                        ; =>  This Inner Loop Header: Depth=2
	s_add_u32 s18, s0, s14
	s_addc_u32 s19, s1, s15
	global_load_ubyte v0, v1, s[18:19]
	s_add_u32 s14, s14, 1
	s_addc_u32 s15, s15, 0
	s_waitcnt vmcnt(0)
	v_and_b32_e32 v0, 0xffff, v0
	v_lshlrev_b64 v[9:10], s12, v[0:1]
	s_add_u32 s12, s12, 8
	s_addc_u32 s13, s13, 0
	v_or_b32_e32 v13, v9, v13
	s_cmp_lg_u32 s16, s14
	v_or_b32_e32 v14, v10, v14
	s_cbranch_scc1 .LBB4_370
	s_branch .LBB4_373
.LBB4_371:                              ;   in Loop: Header=BB4_359 Depth=1
                                        ; implicit-def: $vgpr13_vgpr14
	s_mov_b32 s17, 0
	s_branch .LBB4_374
.LBB4_372:                              ;   in Loop: Header=BB4_359 Depth=1
	v_mov_b32_e32 v13, 0
	v_mov_b32_e32 v14, 0
.LBB4_373:                              ;   in Loop: Header=BB4_359 Depth=1
	s_mov_b64 s[12:13], s[0:1]
	s_mov_b32 s17, 0
	s_cbranch_execnz .LBB4_375
.LBB4_374:                              ;   in Loop: Header=BB4_359 Depth=1
	global_load_dwordx2 v[13:14], v1, s[0:1]
	s_add_i32 s17, s16, -8
.LBB4_375:                              ;   in Loop: Header=BB4_359 Depth=1
	s_add_u32 s0, s12, 8
	s_addc_u32 s1, s13, 0
	s_cmp_gt_u32 s17, 7
	s_cbranch_scc1 .LBB4_379
; %bb.376:                              ;   in Loop: Header=BB4_359 Depth=1
	s_cmp_eq_u32 s17, 0
	s_cbranch_scc1 .LBB4_380
; %bb.377:                              ;   in Loop: Header=BB4_359 Depth=1
	v_mov_b32_e32 v15, 0
	s_mov_b64 s[0:1], 0
	v_mov_b32_e32 v16, 0
	s_mov_b64 s[14:15], 0
.LBB4_378:                              ;   Parent Loop BB4_359 Depth=1
                                        ; =>  This Inner Loop Header: Depth=2
	s_add_u32 s18, s12, s14
	s_addc_u32 s19, s13, s15
	global_load_ubyte v0, v1, s[18:19]
	s_add_u32 s14, s14, 1
	s_addc_u32 s15, s15, 0
	s_waitcnt vmcnt(0)
	v_and_b32_e32 v0, 0xffff, v0
	v_lshlrev_b64 v[9:10], s0, v[0:1]
	s_add_u32 s0, s0, 8
	s_addc_u32 s1, s1, 0
	v_or_b32_e32 v15, v9, v15
	s_cmp_lg_u32 s17, s14
	v_or_b32_e32 v16, v10, v16
	s_cbranch_scc1 .LBB4_378
	s_branch .LBB4_381
.LBB4_379:                              ;   in Loop: Header=BB4_359 Depth=1
	s_mov_b32 s16, 0
	s_branch .LBB4_382
.LBB4_380:                              ;   in Loop: Header=BB4_359 Depth=1
	v_mov_b32_e32 v15, 0
	v_mov_b32_e32 v16, 0
.LBB4_381:                              ;   in Loop: Header=BB4_359 Depth=1
	s_mov_b64 s[0:1], s[12:13]
	s_mov_b32 s16, 0
	s_cbranch_execnz .LBB4_383
.LBB4_382:                              ;   in Loop: Header=BB4_359 Depth=1
	global_load_dwordx2 v[15:16], v1, s[12:13]
	s_add_i32 s16, s17, -8
.LBB4_383:                              ;   in Loop: Header=BB4_359 Depth=1
	s_add_u32 s12, s0, 8
	s_addc_u32 s13, s1, 0
	s_cmp_gt_u32 s16, 7
	s_cbranch_scc1 .LBB4_387
; %bb.384:                              ;   in Loop: Header=BB4_359 Depth=1
	s_cmp_eq_u32 s16, 0
	s_cbranch_scc1 .LBB4_388
; %bb.385:                              ;   in Loop: Header=BB4_359 Depth=1
	v_mov_b32_e32 v17, 0
	s_mov_b64 s[12:13], 0
	v_mov_b32_e32 v18, 0
	s_mov_b64 s[14:15], 0
.LBB4_386:                              ;   Parent Loop BB4_359 Depth=1
                                        ; =>  This Inner Loop Header: Depth=2
	s_add_u32 s18, s0, s14
	s_addc_u32 s19, s1, s15
	global_load_ubyte v0, v1, s[18:19]
	s_add_u32 s14, s14, 1
	s_addc_u32 s15, s15, 0
	s_waitcnt vmcnt(0)
	v_and_b32_e32 v0, 0xffff, v0
	v_lshlrev_b64 v[9:10], s12, v[0:1]
	s_add_u32 s12, s12, 8
	s_addc_u32 s13, s13, 0
	v_or_b32_e32 v17, v9, v17
	s_cmp_lg_u32 s16, s14
	v_or_b32_e32 v18, v10, v18
	s_cbranch_scc1 .LBB4_386
	s_branch .LBB4_389
.LBB4_387:                              ;   in Loop: Header=BB4_359 Depth=1
                                        ; implicit-def: $vgpr17_vgpr18
	s_mov_b32 s17, 0
	s_branch .LBB4_390
.LBB4_388:                              ;   in Loop: Header=BB4_359 Depth=1
	v_mov_b32_e32 v17, 0
	v_mov_b32_e32 v18, 0
.LBB4_389:                              ;   in Loop: Header=BB4_359 Depth=1
	s_mov_b64 s[12:13], s[0:1]
	s_mov_b32 s17, 0
	s_cbranch_execnz .LBB4_391
.LBB4_390:                              ;   in Loop: Header=BB4_359 Depth=1
	global_load_dwordx2 v[17:18], v1, s[0:1]
	s_add_i32 s17, s16, -8
.LBB4_391:                              ;   in Loop: Header=BB4_359 Depth=1
	s_add_u32 s0, s12, 8
	s_addc_u32 s1, s13, 0
	s_cmp_gt_u32 s17, 7
	s_cbranch_scc1 .LBB4_395
; %bb.392:                              ;   in Loop: Header=BB4_359 Depth=1
	s_cmp_eq_u32 s17, 0
	s_cbranch_scc1 .LBB4_396
; %bb.393:                              ;   in Loop: Header=BB4_359 Depth=1
	v_mov_b32_e32 v19, 0
	s_mov_b64 s[0:1], 0
	v_mov_b32_e32 v20, 0
	s_mov_b64 s[14:15], 0
.LBB4_394:                              ;   Parent Loop BB4_359 Depth=1
                                        ; =>  This Inner Loop Header: Depth=2
	s_add_u32 s18, s12, s14
	s_addc_u32 s19, s13, s15
	global_load_ubyte v0, v1, s[18:19]
	s_add_u32 s14, s14, 1
	s_addc_u32 s15, s15, 0
	s_waitcnt vmcnt(0)
	v_and_b32_e32 v0, 0xffff, v0
	v_lshlrev_b64 v[9:10], s0, v[0:1]
	s_add_u32 s0, s0, 8
	s_addc_u32 s1, s1, 0
	v_or_b32_e32 v19, v9, v19
	s_cmp_lg_u32 s17, s14
	v_or_b32_e32 v20, v10, v20
	s_cbranch_scc1 .LBB4_394
	s_branch .LBB4_397
.LBB4_395:                              ;   in Loop: Header=BB4_359 Depth=1
	s_mov_b32 s16, 0
	s_branch .LBB4_398
.LBB4_396:                              ;   in Loop: Header=BB4_359 Depth=1
	v_mov_b32_e32 v19, 0
	v_mov_b32_e32 v20, 0
.LBB4_397:                              ;   in Loop: Header=BB4_359 Depth=1
	s_mov_b64 s[0:1], s[12:13]
	s_mov_b32 s16, 0
	s_cbranch_execnz .LBB4_399
.LBB4_398:                              ;   in Loop: Header=BB4_359 Depth=1
	global_load_dwordx2 v[19:20], v1, s[12:13]
	s_add_i32 s16, s17, -8
.LBB4_399:                              ;   in Loop: Header=BB4_359 Depth=1
	s_add_u32 s12, s0, 8
	s_addc_u32 s13, s1, 0
	s_cmp_gt_u32 s16, 7
	s_cbranch_scc1 .LBB4_403
; %bb.400:                              ;   in Loop: Header=BB4_359 Depth=1
	s_cmp_eq_u32 s16, 0
	s_cbranch_scc1 .LBB4_404
; %bb.401:                              ;   in Loop: Header=BB4_359 Depth=1
	v_mov_b32_e32 v21, 0
	s_mov_b64 s[12:13], 0
	v_mov_b32_e32 v22, 0
	s_mov_b64 s[14:15], 0
.LBB4_402:                              ;   Parent Loop BB4_359 Depth=1
                                        ; =>  This Inner Loop Header: Depth=2
	s_add_u32 s18, s0, s14
	s_addc_u32 s19, s1, s15
	global_load_ubyte v0, v1, s[18:19]
	s_add_u32 s14, s14, 1
	s_addc_u32 s15, s15, 0
	s_waitcnt vmcnt(0)
	v_and_b32_e32 v0, 0xffff, v0
	v_lshlrev_b64 v[9:10], s12, v[0:1]
	s_add_u32 s12, s12, 8
	s_addc_u32 s13, s13, 0
	v_or_b32_e32 v21, v9, v21
	s_cmp_lg_u32 s16, s14
	v_or_b32_e32 v22, v10, v22
	s_cbranch_scc1 .LBB4_402
	s_branch .LBB4_405
.LBB4_403:                              ;   in Loop: Header=BB4_359 Depth=1
                                        ; implicit-def: $vgpr21_vgpr22
	s_mov_b32 s17, 0
	s_branch .LBB4_406
.LBB4_404:                              ;   in Loop: Header=BB4_359 Depth=1
	v_mov_b32_e32 v21, 0
	v_mov_b32_e32 v22, 0
.LBB4_405:                              ;   in Loop: Header=BB4_359 Depth=1
	s_mov_b64 s[12:13], s[0:1]
	s_mov_b32 s17, 0
	s_cbranch_execnz .LBB4_407
.LBB4_406:                              ;   in Loop: Header=BB4_359 Depth=1
	global_load_dwordx2 v[21:22], v1, s[0:1]
	s_add_i32 s17, s16, -8
.LBB4_407:                              ;   in Loop: Header=BB4_359 Depth=1
	s_cmp_gt_u32 s17, 7
	s_cbranch_scc1 .LBB4_411
; %bb.408:                              ;   in Loop: Header=BB4_359 Depth=1
	s_cmp_eq_u32 s17, 0
	s_cbranch_scc1 .LBB4_412
; %bb.409:                              ;   in Loop: Header=BB4_359 Depth=1
	v_mov_b32_e32 v23, 0
	s_mov_b64 s[0:1], 0
	v_mov_b32_e32 v24, 0
	s_mov_b64 s[14:15], s[12:13]
.LBB4_410:                              ;   Parent Loop BB4_359 Depth=1
                                        ; =>  This Inner Loop Header: Depth=2
	global_load_ubyte v0, v1, s[14:15]
	s_add_i32 s17, s17, -1
	s_waitcnt vmcnt(0)
	v_and_b32_e32 v0, 0xffff, v0
	v_lshlrev_b64 v[9:10], s0, v[0:1]
	s_add_u32 s0, s0, 8
	s_addc_u32 s1, s1, 0
	s_add_u32 s14, s14, 1
	s_addc_u32 s15, s15, 0
	v_or_b32_e32 v23, v9, v23
	s_cmp_lg_u32 s17, 0
	v_or_b32_e32 v24, v10, v24
	s_cbranch_scc1 .LBB4_410
	s_branch .LBB4_413
.LBB4_411:                              ;   in Loop: Header=BB4_359 Depth=1
	s_branch .LBB4_414
.LBB4_412:                              ;   in Loop: Header=BB4_359 Depth=1
	v_mov_b32_e32 v23, 0
	v_mov_b32_e32 v24, 0
.LBB4_413:                              ;   in Loop: Header=BB4_359 Depth=1
	s_cbranch_execnz .LBB4_415
.LBB4_414:                              ;   in Loop: Header=BB4_359 Depth=1
	global_load_dwordx2 v[23:24], v1, s[12:13]
.LBB4_415:                              ;   in Loop: Header=BB4_359 Depth=1
	v_readfirstlane_b32 s0, v32
	v_mov_b32_e32 v9, 0
	v_mov_b32_e32 v10, 0
	v_cmp_eq_u32_e64 s[0:1], s0, v32
	s_and_saveexec_b64 s[12:13], s[0:1]
	s_cbranch_execz .LBB4_421
; %bb.416:                              ;   in Loop: Header=BB4_359 Depth=1
	global_load_dwordx2 v[27:28], v1, s[2:3] offset:24 glc
	s_waitcnt vmcnt(0)
	buffer_wbinvl1_vol
	global_load_dwordx2 v[9:10], v1, s[2:3] offset:40
	global_load_dwordx2 v[25:26], v1, s[2:3]
	s_waitcnt vmcnt(1)
	v_and_b32_e32 v0, v9, v27
	v_and_b32_e32 v9, v10, v28
	v_mul_lo_u32 v9, v9, 24
	v_mul_hi_u32 v10, v0, 24
	v_mul_lo_u32 v0, v0, 24
	v_add_u32_e32 v10, v10, v9
	s_waitcnt vmcnt(0)
	v_add_co_u32_e32 v9, vcc, v25, v0
	v_addc_co_u32_e32 v10, vcc, v26, v10, vcc
	global_load_dwordx2 v[25:26], v[9:10], off glc
	s_waitcnt vmcnt(0)
	global_atomic_cmpswap_x2 v[9:10], v1, v[25:28], s[2:3] offset:24 glc
	s_waitcnt vmcnt(0)
	buffer_wbinvl1_vol
	v_cmp_ne_u64_e32 vcc, v[9:10], v[27:28]
	s_and_saveexec_b64 s[14:15], vcc
	s_cbranch_execz .LBB4_420
; %bb.417:                              ;   in Loop: Header=BB4_359 Depth=1
	s_mov_b64 s[16:17], 0
.LBB4_418:                              ;   Parent Loop BB4_359 Depth=1
                                        ; =>  This Inner Loop Header: Depth=2
	s_sleep 1
	global_load_dwordx2 v[25:26], v1, s[2:3] offset:40
	global_load_dwordx2 v[29:30], v1, s[2:3]
	v_mov_b32_e32 v28, v10
	v_mov_b32_e32 v27, v9
	s_waitcnt vmcnt(1)
	v_and_b32_e32 v0, v25, v27
	s_waitcnt vmcnt(0)
	v_mad_u64_u32 v[9:10], s[18:19], v0, 24, v[29:30]
	v_and_b32_e32 v25, v26, v28
	v_mov_b32_e32 v0, v10
	v_mad_u64_u32 v[25:26], s[18:19], v25, 24, v[0:1]
	v_mov_b32_e32 v10, v25
	global_load_dwordx2 v[25:26], v[9:10], off glc
	s_waitcnt vmcnt(0)
	global_atomic_cmpswap_x2 v[9:10], v1, v[25:28], s[2:3] offset:24 glc
	s_waitcnt vmcnt(0)
	buffer_wbinvl1_vol
	v_cmp_eq_u64_e32 vcc, v[9:10], v[27:28]
	s_or_b64 s[16:17], vcc, s[16:17]
	s_andn2_b64 exec, exec, s[16:17]
	s_cbranch_execnz .LBB4_418
; %bb.419:                              ;   in Loop: Header=BB4_359 Depth=1
	s_or_b64 exec, exec, s[16:17]
.LBB4_420:                              ;   in Loop: Header=BB4_359 Depth=1
	s_or_b64 exec, exec, s[14:15]
.LBB4_421:                              ;   in Loop: Header=BB4_359 Depth=1
	s_or_b64 exec, exec, s[12:13]
	global_load_dwordx2 v[29:30], v1, s[2:3] offset:40
	global_load_dwordx4 v[25:28], v1, s[2:3]
	v_readfirstlane_b32 s13, v10
	v_readfirstlane_b32 s12, v9
	s_mov_b64 s[14:15], exec
	s_waitcnt vmcnt(1)
	v_readfirstlane_b32 s16, v29
	v_readfirstlane_b32 s17, v30
	s_and_b64 s[16:17], s[16:17], s[12:13]
	s_mul_i32 s18, s17, 24
	s_mul_hi_u32 s19, s16, 24
	s_mul_i32 s20, s16, 24
	s_add_i32 s18, s19, s18
	v_mov_b32_e32 v0, s18
	s_waitcnt vmcnt(0)
	v_add_co_u32_e32 v29, vcc, s20, v25
	v_addc_co_u32_e32 v30, vcc, v26, v0, vcc
	s_and_saveexec_b64 s[18:19], s[0:1]
	s_cbranch_execz .LBB4_423
; %bb.422:                              ;   in Loop: Header=BB4_359 Depth=1
	v_mov_b32_e32 v9, s14
	v_mov_b32_e32 v10, s15
	global_store_dwordx4 v[29:30], v[9:12], off offset:8
.LBB4_423:                              ;   in Loop: Header=BB4_359 Depth=1
	s_or_b64 exec, exec, s[18:19]
	s_lshl_b64 s[14:15], s[16:17], 12
	v_mov_b32_e32 v0, s15
	v_add_co_u32_e32 v27, vcc, s14, v27
	v_addc_co_u32_e32 v28, vcc, v28, v0, vcc
	v_cmp_lt_u64_e64 vcc, s[8:9], 57
	v_and_b32_e32 v0, 2, v3
	s_lshl_b32 s14, s10, 2
	v_cndmask_b32_e32 v0, 0, v0, vcc
	s_add_i32 s14, s14, 28
	v_and_b32_e32 v5, 0xffffff1f, v5
	s_and_b32 s14, s14, 0x1e0
	v_or_b32_e32 v0, v5, v0
	v_or_b32_e32 v5, s14, v0
	v_readfirstlane_b32 s14, v27
	v_readfirstlane_b32 s15, v28
	s_nop 4
	global_store_dwordx4 v31, v[5:8], s[14:15]
	global_store_dwordx4 v31, v[13:16], s[14:15] offset:16
	global_store_dwordx4 v31, v[17:20], s[14:15] offset:32
	;; [unrolled: 1-line block ×3, first 2 shown]
	s_and_saveexec_b64 s[14:15], s[0:1]
	s_cbranch_execz .LBB4_431
; %bb.424:                              ;   in Loop: Header=BB4_359 Depth=1
	global_load_dwordx2 v[15:16], v1, s[2:3] offset:32 glc
	global_load_dwordx2 v[5:6], v1, s[2:3] offset:40
	v_mov_b32_e32 v13, s12
	v_mov_b32_e32 v14, s13
	s_waitcnt vmcnt(0)
	v_readfirstlane_b32 s16, v5
	v_readfirstlane_b32 s17, v6
	s_and_b64 s[16:17], s[16:17], s[12:13]
	s_mul_i32 s17, s17, 24
	s_mul_hi_u32 s18, s16, 24
	s_mul_i32 s16, s16, 24
	s_add_i32 s17, s18, s17
	v_mov_b32_e32 v0, s17
	v_add_co_u32_e32 v9, vcc, s16, v25
	v_addc_co_u32_e32 v10, vcc, v26, v0, vcc
	global_store_dwordx2 v[9:10], v[15:16], off
	s_waitcnt vmcnt(0)
	global_atomic_cmpswap_x2 v[7:8], v1, v[13:16], s[2:3] offset:32 glc
	s_waitcnt vmcnt(0)
	v_cmp_ne_u64_e32 vcc, v[7:8], v[15:16]
	s_and_saveexec_b64 s[16:17], vcc
	s_cbranch_execz .LBB4_427
; %bb.425:                              ;   in Loop: Header=BB4_359 Depth=1
	s_mov_b64 s[18:19], 0
.LBB4_426:                              ;   Parent Loop BB4_359 Depth=1
                                        ; =>  This Inner Loop Header: Depth=2
	s_sleep 1
	global_store_dwordx2 v[9:10], v[7:8], off
	v_mov_b32_e32 v5, s12
	v_mov_b32_e32 v6, s13
	s_waitcnt vmcnt(0)
	global_atomic_cmpswap_x2 v[5:6], v1, v[5:8], s[2:3] offset:32 glc
	s_waitcnt vmcnt(0)
	v_cmp_eq_u64_e32 vcc, v[5:6], v[7:8]
	v_mov_b32_e32 v8, v6
	s_or_b64 s[18:19], vcc, s[18:19]
	v_mov_b32_e32 v7, v5
	s_andn2_b64 exec, exec, s[18:19]
	s_cbranch_execnz .LBB4_426
.LBB4_427:                              ;   in Loop: Header=BB4_359 Depth=1
	s_or_b64 exec, exec, s[16:17]
	global_load_dwordx2 v[5:6], v1, s[2:3] offset:16
	s_mov_b64 s[18:19], exec
	v_mbcnt_lo_u32_b32 v0, s18, 0
	v_mbcnt_hi_u32_b32 v0, s19, v0
	v_cmp_eq_u32_e32 vcc, 0, v0
	s_and_saveexec_b64 s[16:17], vcc
	s_cbranch_execz .LBB4_429
; %bb.428:                              ;   in Loop: Header=BB4_359 Depth=1
	s_bcnt1_i32_b64 s18, s[18:19]
	v_mov_b32_e32 v0, s18
	s_waitcnt vmcnt(0)
	global_atomic_add_x2 v[5:6], v[0:1], off offset:8
.LBB4_429:                              ;   in Loop: Header=BB4_359 Depth=1
	s_or_b64 exec, exec, s[16:17]
	s_waitcnt vmcnt(0)
	global_load_dwordx2 v[7:8], v[5:6], off offset:16
	s_waitcnt vmcnt(0)
	v_cmp_eq_u64_e32 vcc, 0, v[7:8]
	s_cbranch_vccnz .LBB4_431
; %bb.430:                              ;   in Loop: Header=BB4_359 Depth=1
	global_load_dword v0, v[5:6], off offset:24
	s_waitcnt vmcnt(0)
	v_readfirstlane_b32 s16, v0
	s_and_b32 m0, s16, 0xffffff
	global_store_dwordx2 v[7:8], v[0:1], off
	s_sendmsg sendmsg(MSG_INTERRUPT)
.LBB4_431:                              ;   in Loop: Header=BB4_359 Depth=1
	s_or_b64 exec, exec, s[14:15]
	v_add_co_u32_e32 v5, vcc, v27, v31
	v_addc_co_u32_e32 v6, vcc, 0, v28, vcc
	s_branch .LBB4_435
.LBB4_432:                              ;   in Loop: Header=BB4_435 Depth=2
	s_or_b64 exec, exec, s[14:15]
	v_readfirstlane_b32 s14, v0
	s_cmp_eq_u32 s14, 0
	s_cbranch_scc1 .LBB4_434
; %bb.433:                              ;   in Loop: Header=BB4_435 Depth=2
	s_sleep 1
	s_cbranch_execnz .LBB4_435
	s_branch .LBB4_437
.LBB4_434:                              ;   in Loop: Header=BB4_359 Depth=1
	s_branch .LBB4_437
.LBB4_435:                              ;   Parent Loop BB4_359 Depth=1
                                        ; =>  This Inner Loop Header: Depth=2
	v_mov_b32_e32 v0, 1
	s_and_saveexec_b64 s[14:15], s[0:1]
	s_cbranch_execz .LBB4_432
; %bb.436:                              ;   in Loop: Header=BB4_435 Depth=2
	global_load_dword v0, v[29:30], off offset:20 glc
	s_waitcnt vmcnt(0)
	buffer_wbinvl1_vol
	v_and_b32_e32 v0, 1, v0
	s_branch .LBB4_432
.LBB4_437:                              ;   in Loop: Header=BB4_359 Depth=1
	global_load_dwordx2 v[5:6], v[5:6], off
	s_and_saveexec_b64 s[14:15], s[0:1]
	s_cbranch_execz .LBB4_358
; %bb.438:                              ;   in Loop: Header=BB4_359 Depth=1
	global_load_dwordx2 v[7:8], v1, s[2:3] offset:40
	global_load_dwordx2 v[17:18], v1, s[2:3] offset:24 glc
	global_load_dwordx2 v[9:10], v1, s[2:3]
	s_waitcnt vmcnt(2)
	v_readfirstlane_b32 s16, v7
	v_readfirstlane_b32 s17, v8
	s_add_u32 s18, s16, 1
	s_addc_u32 s19, s17, 0
	s_add_u32 s0, s18, s12
	s_addc_u32 s1, s19, s13
	s_cmp_eq_u64 s[0:1], 0
	s_cselect_b32 s1, s19, s1
	s_cselect_b32 s0, s18, s0
	s_and_b64 s[12:13], s[0:1], s[16:17]
	s_mul_i32 s13, s13, 24
	s_mul_hi_u32 s16, s12, 24
	s_mul_i32 s12, s12, 24
	s_add_i32 s13, s16, s13
	v_mov_b32_e32 v0, s13
	s_waitcnt vmcnt(0)
	v_add_co_u32_e32 v13, vcc, s12, v9
	v_addc_co_u32_e32 v14, vcc, v10, v0, vcc
	v_mov_b32_e32 v15, s0
	global_store_dwordx2 v[13:14], v[17:18], off
	v_mov_b32_e32 v16, s1
	s_waitcnt vmcnt(0)
	global_atomic_cmpswap_x2 v[9:10], v1, v[15:18], s[2:3] offset:24 glc
	s_waitcnt vmcnt(0)
	v_cmp_ne_u64_e32 vcc, v[9:10], v[17:18]
	s_and_b64 exec, exec, vcc
	s_cbranch_execz .LBB4_358
; %bb.439:                              ;   in Loop: Header=BB4_359 Depth=1
	s_mov_b64 s[12:13], 0
.LBB4_440:                              ;   Parent Loop BB4_359 Depth=1
                                        ; =>  This Inner Loop Header: Depth=2
	s_sleep 1
	global_store_dwordx2 v[13:14], v[9:10], off
	v_mov_b32_e32 v7, s0
	v_mov_b32_e32 v8, s1
	s_waitcnt vmcnt(0)
	global_atomic_cmpswap_x2 v[7:8], v1, v[7:10], s[2:3] offset:24 glc
	s_waitcnt vmcnt(0)
	v_cmp_eq_u64_e32 vcc, v[7:8], v[9:10]
	v_mov_b32_e32 v10, v8
	s_or_b64 s[12:13], vcc, s[12:13]
	v_mov_b32_e32 v9, v7
	s_andn2_b64 exec, exec, s[12:13]
	s_cbranch_execnz .LBB4_440
	s_branch .LBB4_358
.LBB4_441:
	s_branch .LBB4_469
.LBB4_442:
                                        ; implicit-def: $vgpr5_vgpr6
	s_cbranch_execz .LBB4_469
; %bb.443:
	v_readfirstlane_b32 s0, v32
	v_mov_b32_e32 v0, 0
	v_mov_b32_e32 v1, 0
	v_cmp_eq_u32_e64 s[0:1], s0, v32
	s_and_saveexec_b64 s[4:5], s[0:1]
	s_cbranch_execz .LBB4_449
; %bb.444:
	s_waitcnt vmcnt(0)
	v_mov_b32_e32 v5, 0
	global_load_dwordx2 v[8:9], v5, s[2:3] offset:24 glc
	s_waitcnt vmcnt(0)
	buffer_wbinvl1_vol
	global_load_dwordx2 v[0:1], v5, s[2:3] offset:40
	global_load_dwordx2 v[6:7], v5, s[2:3]
	s_waitcnt vmcnt(1)
	v_and_b32_e32 v0, v0, v8
	v_and_b32_e32 v1, v1, v9
	v_mul_lo_u32 v1, v1, 24
	v_mul_hi_u32 v10, v0, 24
	v_mul_lo_u32 v0, v0, 24
	v_add_u32_e32 v1, v10, v1
	s_waitcnt vmcnt(0)
	v_add_co_u32_e32 v0, vcc, v6, v0
	v_addc_co_u32_e32 v1, vcc, v7, v1, vcc
	global_load_dwordx2 v[6:7], v[0:1], off glc
	s_waitcnt vmcnt(0)
	global_atomic_cmpswap_x2 v[0:1], v5, v[6:9], s[2:3] offset:24 glc
	s_waitcnt vmcnt(0)
	buffer_wbinvl1_vol
	v_cmp_ne_u64_e32 vcc, v[0:1], v[8:9]
	s_and_saveexec_b64 s[8:9], vcc
	s_cbranch_execz .LBB4_448
; %bb.445:
	s_mov_b64 s[10:11], 0
.LBB4_446:                              ; =>This Inner Loop Header: Depth=1
	s_sleep 1
	global_load_dwordx2 v[6:7], v5, s[2:3] offset:40
	global_load_dwordx2 v[10:11], v5, s[2:3]
	v_mov_b32_e32 v9, v1
	v_mov_b32_e32 v8, v0
	s_waitcnt vmcnt(1)
	v_and_b32_e32 v0, v6, v8
	s_waitcnt vmcnt(0)
	v_mad_u64_u32 v[0:1], s[12:13], v0, 24, v[10:11]
	v_and_b32_e32 v6, v7, v9
	v_mad_u64_u32 v[6:7], s[12:13], v6, 24, v[1:2]
	v_mov_b32_e32 v1, v6
	global_load_dwordx2 v[6:7], v[0:1], off glc
	s_waitcnt vmcnt(0)
	global_atomic_cmpswap_x2 v[0:1], v5, v[6:9], s[2:3] offset:24 glc
	s_waitcnt vmcnt(0)
	buffer_wbinvl1_vol
	v_cmp_eq_u64_e32 vcc, v[0:1], v[8:9]
	s_or_b64 s[10:11], vcc, s[10:11]
	s_andn2_b64 exec, exec, s[10:11]
	s_cbranch_execnz .LBB4_446
; %bb.447:
	s_or_b64 exec, exec, s[10:11]
.LBB4_448:
	s_or_b64 exec, exec, s[8:9]
.LBB4_449:
	s_or_b64 exec, exec, s[4:5]
	s_waitcnt vmcnt(0)
	v_mov_b32_e32 v5, 0
	global_load_dwordx2 v[11:12], v5, s[2:3] offset:40
	global_load_dwordx4 v[7:10], v5, s[2:3]
	v_readfirstlane_b32 s5, v1
	v_readfirstlane_b32 s4, v0
	s_mov_b64 s[8:9], exec
	s_waitcnt vmcnt(1)
	v_readfirstlane_b32 s10, v11
	v_readfirstlane_b32 s11, v12
	s_and_b64 s[10:11], s[10:11], s[4:5]
	s_mul_i32 s12, s11, 24
	s_mul_hi_u32 s13, s10, 24
	s_mul_i32 s14, s10, 24
	s_add_i32 s12, s13, s12
	v_mov_b32_e32 v1, s12
	s_waitcnt vmcnt(0)
	v_add_co_u32_e32 v0, vcc, s14, v7
	v_addc_co_u32_e32 v1, vcc, v8, v1, vcc
	s_and_saveexec_b64 s[12:13], s[0:1]
	s_cbranch_execz .LBB4_451
; %bb.450:
	v_mov_b32_e32 v12, s9
	v_mov_b32_e32 v11, s8
	;; [unrolled: 1-line block ×4, first 2 shown]
	global_store_dwordx4 v[0:1], v[11:14], off offset:8
.LBB4_451:
	s_or_b64 exec, exec, s[12:13]
	s_lshl_b64 s[8:9], s[10:11], 12
	v_mov_b32_e32 v6, s9
	v_add_co_u32_e32 v11, vcc, s8, v9
	v_addc_co_u32_e32 v12, vcc, v10, v6, vcc
	s_movk_i32 s8, 0xff1f
	v_and_or_b32 v3, v3, s8, 32
	s_mov_b32 s8, 0
	v_mov_b32_e32 v6, v5
	v_readfirstlane_b32 s12, v11
	v_readfirstlane_b32 s13, v12
	v_add_co_u32_e32 v9, vcc, v11, v31
	s_mov_b32 s9, s8
	s_mov_b32 s10, s8
	;; [unrolled: 1-line block ×3, first 2 shown]
	s_nop 0
	global_store_dwordx4 v31, v[3:6], s[12:13]
	v_addc_co_u32_e32 v10, vcc, 0, v12, vcc
	v_mov_b32_e32 v3, s8
	v_mov_b32_e32 v4, s9
	v_mov_b32_e32 v5, s10
	v_mov_b32_e32 v6, s11
	global_store_dwordx4 v31, v[3:6], s[12:13] offset:16
	global_store_dwordx4 v31, v[3:6], s[12:13] offset:32
	;; [unrolled: 1-line block ×3, first 2 shown]
	s_and_saveexec_b64 s[8:9], s[0:1]
	s_cbranch_execz .LBB4_459
; %bb.452:
	v_mov_b32_e32 v11, 0
	global_load_dwordx2 v[14:15], v11, s[2:3] offset:32 glc
	global_load_dwordx2 v[3:4], v11, s[2:3] offset:40
	v_mov_b32_e32 v12, s4
	v_mov_b32_e32 v13, s5
	s_waitcnt vmcnt(0)
	v_readfirstlane_b32 s10, v3
	v_readfirstlane_b32 s11, v4
	s_and_b64 s[10:11], s[10:11], s[4:5]
	s_mul_i32 s11, s11, 24
	s_mul_hi_u32 s12, s10, 24
	s_mul_i32 s10, s10, 24
	s_add_i32 s11, s12, s11
	v_mov_b32_e32 v3, s11
	v_add_co_u32_e32 v7, vcc, s10, v7
	v_addc_co_u32_e32 v8, vcc, v8, v3, vcc
	global_store_dwordx2 v[7:8], v[14:15], off
	s_waitcnt vmcnt(0)
	global_atomic_cmpswap_x2 v[5:6], v11, v[12:15], s[2:3] offset:32 glc
	s_waitcnt vmcnt(0)
	v_cmp_ne_u64_e32 vcc, v[5:6], v[14:15]
	s_and_saveexec_b64 s[10:11], vcc
	s_cbranch_execz .LBB4_455
; %bb.453:
	s_mov_b64 s[12:13], 0
.LBB4_454:                              ; =>This Inner Loop Header: Depth=1
	s_sleep 1
	global_store_dwordx2 v[7:8], v[5:6], off
	v_mov_b32_e32 v3, s4
	v_mov_b32_e32 v4, s5
	s_waitcnt vmcnt(0)
	global_atomic_cmpswap_x2 v[3:4], v11, v[3:6], s[2:3] offset:32 glc
	s_waitcnt vmcnt(0)
	v_cmp_eq_u64_e32 vcc, v[3:4], v[5:6]
	v_mov_b32_e32 v6, v4
	s_or_b64 s[12:13], vcc, s[12:13]
	v_mov_b32_e32 v5, v3
	s_andn2_b64 exec, exec, s[12:13]
	s_cbranch_execnz .LBB4_454
.LBB4_455:
	s_or_b64 exec, exec, s[10:11]
	v_mov_b32_e32 v6, 0
	global_load_dwordx2 v[3:4], v6, s[2:3] offset:16
	s_mov_b64 s[10:11], exec
	v_mbcnt_lo_u32_b32 v5, s10, 0
	v_mbcnt_hi_u32_b32 v5, s11, v5
	v_cmp_eq_u32_e32 vcc, 0, v5
	s_and_saveexec_b64 s[12:13], vcc
	s_cbranch_execz .LBB4_457
; %bb.456:
	s_bcnt1_i32_b64 s10, s[10:11]
	v_mov_b32_e32 v5, s10
	s_waitcnt vmcnt(0)
	global_atomic_add_x2 v[3:4], v[5:6], off offset:8
.LBB4_457:
	s_or_b64 exec, exec, s[12:13]
	s_waitcnt vmcnt(0)
	global_load_dwordx2 v[5:6], v[3:4], off offset:16
	s_waitcnt vmcnt(0)
	v_cmp_eq_u64_e32 vcc, 0, v[5:6]
	s_cbranch_vccnz .LBB4_459
; %bb.458:
	global_load_dword v3, v[3:4], off offset:24
	v_mov_b32_e32 v4, 0
	s_waitcnt vmcnt(0)
	v_readfirstlane_b32 s10, v3
	s_and_b32 m0, s10, 0xffffff
	global_store_dwordx2 v[5:6], v[3:4], off
	s_sendmsg sendmsg(MSG_INTERRUPT)
.LBB4_459:
	s_or_b64 exec, exec, s[8:9]
	s_branch .LBB4_463
.LBB4_460:                              ;   in Loop: Header=BB4_463 Depth=1
	s_or_b64 exec, exec, s[8:9]
	v_readfirstlane_b32 s8, v3
	s_cmp_eq_u32 s8, 0
	s_cbranch_scc1 .LBB4_462
; %bb.461:                              ;   in Loop: Header=BB4_463 Depth=1
	s_sleep 1
	s_cbranch_execnz .LBB4_463
	s_branch .LBB4_465
.LBB4_462:
	s_branch .LBB4_465
.LBB4_463:                              ; =>This Inner Loop Header: Depth=1
	v_mov_b32_e32 v3, 1
	s_and_saveexec_b64 s[8:9], s[0:1]
	s_cbranch_execz .LBB4_460
; %bb.464:                              ;   in Loop: Header=BB4_463 Depth=1
	global_load_dword v3, v[0:1], off offset:20 glc
	s_waitcnt vmcnt(0)
	buffer_wbinvl1_vol
	v_and_b32_e32 v3, 1, v3
	s_branch .LBB4_460
.LBB4_465:
	global_load_dwordx2 v[5:6], v[9:10], off
	s_and_saveexec_b64 s[8:9], s[0:1]
	s_cbranch_execz .LBB4_468
; %bb.466:
	v_mov_b32_e32 v3, 0
	global_load_dwordx2 v[0:1], v3, s[2:3] offset:40
	global_load_dwordx2 v[11:12], v3, s[2:3] offset:24 glc
	global_load_dwordx2 v[7:8], v3, s[2:3]
	s_waitcnt vmcnt(2)
	v_readfirstlane_b32 s10, v0
	v_readfirstlane_b32 s11, v1
	s_add_u32 s12, s10, 1
	s_addc_u32 s13, s11, 0
	s_add_u32 s0, s12, s4
	s_addc_u32 s1, s13, s5
	s_cmp_eq_u64 s[0:1], 0
	s_cselect_b32 s1, s13, s1
	s_cselect_b32 s0, s12, s0
	s_and_b64 s[4:5], s[0:1], s[10:11]
	s_mul_i32 s5, s5, 24
	s_mul_hi_u32 s10, s4, 24
	s_mul_i32 s4, s4, 24
	s_add_i32 s5, s10, s5
	v_mov_b32_e32 v1, s5
	s_waitcnt vmcnt(0)
	v_add_co_u32_e32 v0, vcc, s4, v7
	v_addc_co_u32_e32 v1, vcc, v8, v1, vcc
	v_mov_b32_e32 v9, s0
	global_store_dwordx2 v[0:1], v[11:12], off
	v_mov_b32_e32 v10, s1
	s_waitcnt vmcnt(0)
	global_atomic_cmpswap_x2 v[9:10], v3, v[9:12], s[2:3] offset:24 glc
	s_mov_b64 s[4:5], 0
	s_waitcnt vmcnt(0)
	v_cmp_ne_u64_e32 vcc, v[9:10], v[11:12]
	s_and_b64 exec, exec, vcc
	s_cbranch_execz .LBB4_468
.LBB4_467:                              ; =>This Inner Loop Header: Depth=1
	s_sleep 1
	global_store_dwordx2 v[0:1], v[9:10], off
	v_mov_b32_e32 v7, s0
	v_mov_b32_e32 v8, s1
	s_waitcnt vmcnt(0)
	global_atomic_cmpswap_x2 v[7:8], v3, v[7:10], s[2:3] offset:24 glc
	s_waitcnt vmcnt(0)
	v_cmp_eq_u64_e32 vcc, v[7:8], v[9:10]
	v_mov_b32_e32 v10, v8
	s_or_b64 s[4:5], vcc, s[4:5]
	v_mov_b32_e32 v9, v7
	s_andn2_b64 exec, exec, s[4:5]
	s_cbranch_execnz .LBB4_467
.LBB4_468:
	s_or_b64 exec, exec, s[8:9]
.LBB4_469:
	v_readfirstlane_b32 s0, v32
	v_mov_b32_e32 v0, 0
	v_mov_b32_e32 v1, 0
	v_cmp_eq_u32_e64 s[0:1], s0, v32
	s_and_saveexec_b64 s[4:5], s[0:1]
	s_cbranch_execz .LBB4_475
; %bb.470:
	s_waitcnt vmcnt(0)
	v_mov_b32_e32 v3, 0
	global_load_dwordx2 v[9:10], v3, s[2:3] offset:24 glc
	s_waitcnt vmcnt(0)
	buffer_wbinvl1_vol
	global_load_dwordx2 v[0:1], v3, s[2:3] offset:40
	global_load_dwordx2 v[7:8], v3, s[2:3]
	s_waitcnt vmcnt(1)
	v_and_b32_e32 v0, v0, v9
	v_and_b32_e32 v1, v1, v10
	v_mul_lo_u32 v1, v1, 24
	v_mul_hi_u32 v4, v0, 24
	v_mul_lo_u32 v0, v0, 24
	v_add_u32_e32 v1, v4, v1
	s_waitcnt vmcnt(0)
	v_add_co_u32_e32 v0, vcc, v7, v0
	v_addc_co_u32_e32 v1, vcc, v8, v1, vcc
	global_load_dwordx2 v[7:8], v[0:1], off glc
	s_waitcnt vmcnt(0)
	global_atomic_cmpswap_x2 v[0:1], v3, v[7:10], s[2:3] offset:24 glc
	s_waitcnt vmcnt(0)
	buffer_wbinvl1_vol
	v_cmp_ne_u64_e32 vcc, v[0:1], v[9:10]
	s_and_saveexec_b64 s[8:9], vcc
	s_cbranch_execz .LBB4_474
; %bb.471:
	s_mov_b64 s[10:11], 0
.LBB4_472:                              ; =>This Inner Loop Header: Depth=1
	s_sleep 1
	global_load_dwordx2 v[7:8], v3, s[2:3] offset:40
	global_load_dwordx2 v[11:12], v3, s[2:3]
	v_mov_b32_e32 v10, v1
	v_mov_b32_e32 v9, v0
	s_waitcnt vmcnt(1)
	v_and_b32_e32 v0, v7, v9
	s_waitcnt vmcnt(0)
	v_mad_u64_u32 v[0:1], s[12:13], v0, 24, v[11:12]
	v_and_b32_e32 v4, v8, v10
	v_mad_u64_u32 v[7:8], s[12:13], v4, 24, v[1:2]
	v_mov_b32_e32 v1, v7
	global_load_dwordx2 v[7:8], v[0:1], off glc
	s_waitcnt vmcnt(0)
	global_atomic_cmpswap_x2 v[0:1], v3, v[7:10], s[2:3] offset:24 glc
	s_waitcnt vmcnt(0)
	buffer_wbinvl1_vol
	v_cmp_eq_u64_e32 vcc, v[0:1], v[9:10]
	s_or_b64 s[10:11], vcc, s[10:11]
	s_andn2_b64 exec, exec, s[10:11]
	s_cbranch_execnz .LBB4_472
; %bb.473:
	s_or_b64 exec, exec, s[10:11]
.LBB4_474:
	s_or_b64 exec, exec, s[8:9]
.LBB4_475:
	s_or_b64 exec, exec, s[4:5]
	v_mov_b32_e32 v8, 0
	global_load_dwordx2 v[3:4], v8, s[2:3] offset:40
	global_load_dwordx4 v[9:12], v8, s[2:3]
	v_readfirstlane_b32 s5, v1
	v_readfirstlane_b32 s4, v0
	s_mov_b64 s[8:9], exec
	s_waitcnt vmcnt(1)
	v_readfirstlane_b32 s10, v3
	v_readfirstlane_b32 s11, v4
	s_and_b64 s[10:11], s[10:11], s[4:5]
	s_mul_i32 s12, s11, 24
	s_mul_hi_u32 s13, s10, 24
	s_mul_i32 s14, s10, 24
	s_add_i32 s12, s13, s12
	v_mov_b32_e32 v1, s12
	s_waitcnt vmcnt(0)
	v_add_co_u32_e32 v0, vcc, s14, v9
	v_addc_co_u32_e32 v1, vcc, v10, v1, vcc
	s_and_saveexec_b64 s[12:13], s[0:1]
	s_cbranch_execz .LBB4_477
; %bb.476:
	v_mov_b32_e32 v14, s9
	v_mov_b32_e32 v13, s8
	;; [unrolled: 1-line block ×4, first 2 shown]
	global_store_dwordx4 v[0:1], v[13:16], off offset:8
.LBB4_477:
	s_or_b64 exec, exec, s[12:13]
	s_lshl_b64 s[8:9], s[10:11], 12
	v_mov_b32_e32 v3, s9
	v_add_co_u32_e32 v4, vcc, s8, v11
	v_addc_co_u32_e32 v3, vcc, v12, v3, vcc
	s_movk_i32 s8, 0xff1f
	s_bcnt1_i32_b64 s6, s[6:7]
	v_and_or_b32 v5, v5, s8, 32
	s_mov_b32 s8, 0
	v_add_co_u32_e32 v11, vcc, v4, v31
	v_mov_b32_e32 v7, s6
	v_readfirstlane_b32 s6, v4
	v_readfirstlane_b32 s7, v3
	v_addc_co_u32_e32 v12, vcc, 0, v3, vcc
	s_mov_b32 s9, s8
	s_mov_b32 s10, s8
	;; [unrolled: 1-line block ×3, first 2 shown]
	s_nop 0
	global_store_dwordx4 v31, v[5:8], s[6:7]
	v_mov_b32_e32 v3, s8
	v_mov_b32_e32 v4, s9
	;; [unrolled: 1-line block ×4, first 2 shown]
	global_store_dwordx4 v31, v[3:6], s[6:7] offset:16
	global_store_dwordx4 v31, v[3:6], s[6:7] offset:32
	;; [unrolled: 1-line block ×3, first 2 shown]
	s_and_saveexec_b64 s[6:7], s[0:1]
	s_cbranch_execz .LBB4_485
; %bb.478:
	v_mov_b32_e32 v13, 0
	global_load_dwordx2 v[16:17], v13, s[2:3] offset:32 glc
	global_load_dwordx2 v[3:4], v13, s[2:3] offset:40
	v_mov_b32_e32 v14, s4
	v_mov_b32_e32 v15, s5
	s_waitcnt vmcnt(0)
	v_readfirstlane_b32 s8, v3
	v_readfirstlane_b32 s9, v4
	s_and_b64 s[8:9], s[8:9], s[4:5]
	s_mul_i32 s9, s9, 24
	s_mul_hi_u32 s10, s8, 24
	s_mul_i32 s8, s8, 24
	s_add_i32 s9, s10, s9
	v_mov_b32_e32 v3, s9
	v_add_co_u32_e32 v7, vcc, s8, v9
	v_addc_co_u32_e32 v8, vcc, v10, v3, vcc
	global_store_dwordx2 v[7:8], v[16:17], off
	s_waitcnt vmcnt(0)
	global_atomic_cmpswap_x2 v[5:6], v13, v[14:17], s[2:3] offset:32 glc
	s_waitcnt vmcnt(0)
	v_cmp_ne_u64_e32 vcc, v[5:6], v[16:17]
	s_and_saveexec_b64 s[8:9], vcc
	s_cbranch_execz .LBB4_481
; %bb.479:
	s_mov_b64 s[10:11], 0
.LBB4_480:                              ; =>This Inner Loop Header: Depth=1
	s_sleep 1
	global_store_dwordx2 v[7:8], v[5:6], off
	v_mov_b32_e32 v3, s4
	v_mov_b32_e32 v4, s5
	s_waitcnt vmcnt(0)
	global_atomic_cmpswap_x2 v[3:4], v13, v[3:6], s[2:3] offset:32 glc
	s_waitcnt vmcnt(0)
	v_cmp_eq_u64_e32 vcc, v[3:4], v[5:6]
	v_mov_b32_e32 v6, v4
	s_or_b64 s[10:11], vcc, s[10:11]
	v_mov_b32_e32 v5, v3
	s_andn2_b64 exec, exec, s[10:11]
	s_cbranch_execnz .LBB4_480
.LBB4_481:
	s_or_b64 exec, exec, s[8:9]
	v_mov_b32_e32 v6, 0
	global_load_dwordx2 v[3:4], v6, s[2:3] offset:16
	s_mov_b64 s[8:9], exec
	v_mbcnt_lo_u32_b32 v5, s8, 0
	v_mbcnt_hi_u32_b32 v5, s9, v5
	v_cmp_eq_u32_e32 vcc, 0, v5
	s_and_saveexec_b64 s[10:11], vcc
	s_cbranch_execz .LBB4_483
; %bb.482:
	s_bcnt1_i32_b64 s8, s[8:9]
	v_mov_b32_e32 v5, s8
	s_waitcnt vmcnt(0)
	global_atomic_add_x2 v[3:4], v[5:6], off offset:8
.LBB4_483:
	s_or_b64 exec, exec, s[10:11]
	s_waitcnt vmcnt(0)
	global_load_dwordx2 v[5:6], v[3:4], off offset:16
	s_waitcnt vmcnt(0)
	v_cmp_eq_u64_e32 vcc, 0, v[5:6]
	s_cbranch_vccnz .LBB4_485
; %bb.484:
	global_load_dword v3, v[3:4], off offset:24
	v_mov_b32_e32 v4, 0
	s_waitcnt vmcnt(0)
	v_readfirstlane_b32 s8, v3
	s_and_b32 m0, s8, 0xffffff
	global_store_dwordx2 v[5:6], v[3:4], off
	s_sendmsg sendmsg(MSG_INTERRUPT)
.LBB4_485:
	s_or_b64 exec, exec, s[6:7]
	s_branch .LBB4_489
.LBB4_486:                              ;   in Loop: Header=BB4_489 Depth=1
	s_or_b64 exec, exec, s[6:7]
	v_readfirstlane_b32 s6, v3
	s_cmp_eq_u32 s6, 0
	s_cbranch_scc1 .LBB4_488
; %bb.487:                              ;   in Loop: Header=BB4_489 Depth=1
	s_sleep 1
	s_cbranch_execnz .LBB4_489
	s_branch .LBB4_491
.LBB4_488:
	s_branch .LBB4_491
.LBB4_489:                              ; =>This Inner Loop Header: Depth=1
	v_mov_b32_e32 v3, 1
	s_and_saveexec_b64 s[6:7], s[0:1]
	s_cbranch_execz .LBB4_486
; %bb.490:                              ;   in Loop: Header=BB4_489 Depth=1
	global_load_dword v3, v[0:1], off offset:20 glc
	s_waitcnt vmcnt(0)
	buffer_wbinvl1_vol
	v_and_b32_e32 v3, 1, v3
	s_branch .LBB4_486
.LBB4_491:
	global_load_dwordx2 v[0:1], v[11:12], off
	s_and_saveexec_b64 s[6:7], s[0:1]
	s_cbranch_execz .LBB4_494
; %bb.492:
	v_mov_b32_e32 v9, 0
	global_load_dwordx2 v[3:4], v9, s[2:3] offset:40
	global_load_dwordx2 v[12:13], v9, s[2:3] offset:24 glc
	global_load_dwordx2 v[5:6], v9, s[2:3]
	s_waitcnt vmcnt(2)
	v_readfirstlane_b32 s8, v3
	v_readfirstlane_b32 s9, v4
	s_add_u32 s10, s8, 1
	s_addc_u32 s11, s9, 0
	s_add_u32 s0, s10, s4
	s_addc_u32 s1, s11, s5
	s_cmp_eq_u64 s[0:1], 0
	s_cselect_b32 s1, s11, s1
	s_cselect_b32 s0, s10, s0
	s_and_b64 s[4:5], s[0:1], s[8:9]
	s_mul_i32 s5, s5, 24
	s_mul_hi_u32 s8, s4, 24
	s_mul_i32 s4, s4, 24
	s_add_i32 s5, s8, s5
	v_mov_b32_e32 v3, s5
	s_waitcnt vmcnt(0)
	v_add_co_u32_e32 v7, vcc, s4, v5
	v_addc_co_u32_e32 v8, vcc, v6, v3, vcc
	v_mov_b32_e32 v10, s0
	global_store_dwordx2 v[7:8], v[12:13], off
	v_mov_b32_e32 v11, s1
	s_waitcnt vmcnt(0)
	global_atomic_cmpswap_x2 v[5:6], v9, v[10:13], s[2:3] offset:24 glc
	s_mov_b64 s[4:5], 0
	s_waitcnt vmcnt(0)
	v_cmp_ne_u64_e32 vcc, v[5:6], v[12:13]
	s_and_b64 exec, exec, vcc
	s_cbranch_execz .LBB4_494
.LBB4_493:                              ; =>This Inner Loop Header: Depth=1
	s_sleep 1
	global_store_dwordx2 v[7:8], v[5:6], off
	v_mov_b32_e32 v3, s0
	v_mov_b32_e32 v4, s1
	s_waitcnt vmcnt(0)
	global_atomic_cmpswap_x2 v[3:4], v9, v[3:6], s[2:3] offset:24 glc
	s_waitcnt vmcnt(0)
	v_cmp_eq_u64_e32 vcc, v[3:4], v[5:6]
	v_mov_b32_e32 v6, v4
	s_or_b64 s[4:5], vcc, s[4:5]
	v_mov_b32_e32 v5, v3
	s_andn2_b64 exec, exec, s[4:5]
	s_cbranch_execnz .LBB4_493
.LBB4_494:
	s_or_b64 exec, exec, s[6:7]
	v_readfirstlane_b32 s0, v32
	v_mov_b32_e32 v8, 0
	v_mov_b32_e32 v9, 0
	v_cmp_eq_u32_e64 s[0:1], s0, v32
	s_and_saveexec_b64 s[4:5], s[0:1]
	s_cbranch_execz .LBB4_500
; %bb.495:
	v_mov_b32_e32 v3, 0
	global_load_dwordx2 v[6:7], v3, s[2:3] offset:24 glc
	s_waitcnt vmcnt(0)
	buffer_wbinvl1_vol
	global_load_dwordx2 v[4:5], v3, s[2:3] offset:40
	global_load_dwordx2 v[8:9], v3, s[2:3]
	s_waitcnt vmcnt(1)
	v_and_b32_e32 v4, v4, v6
	v_and_b32_e32 v5, v5, v7
	v_mul_lo_u32 v5, v5, 24
	v_mul_hi_u32 v10, v4, 24
	v_mul_lo_u32 v4, v4, 24
	v_add_u32_e32 v5, v10, v5
	s_waitcnt vmcnt(0)
	v_add_co_u32_e32 v4, vcc, v8, v4
	v_addc_co_u32_e32 v5, vcc, v9, v5, vcc
	global_load_dwordx2 v[4:5], v[4:5], off glc
	s_waitcnt vmcnt(0)
	global_atomic_cmpswap_x2 v[8:9], v3, v[4:7], s[2:3] offset:24 glc
	s_waitcnt vmcnt(0)
	buffer_wbinvl1_vol
	v_cmp_ne_u64_e32 vcc, v[8:9], v[6:7]
	s_and_saveexec_b64 s[6:7], vcc
	s_cbranch_execz .LBB4_499
; %bb.496:
	s_mov_b64 s[8:9], 0
.LBB4_497:                              ; =>This Inner Loop Header: Depth=1
	s_sleep 1
	global_load_dwordx2 v[4:5], v3, s[2:3] offset:40
	global_load_dwordx2 v[10:11], v3, s[2:3]
	v_mov_b32_e32 v6, v8
	v_mov_b32_e32 v7, v9
	s_waitcnt vmcnt(1)
	v_and_b32_e32 v4, v4, v6
	s_waitcnt vmcnt(0)
	v_mad_u64_u32 v[8:9], s[10:11], v4, 24, v[10:11]
	v_and_b32_e32 v5, v5, v7
	v_mov_b32_e32 v4, v9
	v_mad_u64_u32 v[4:5], s[10:11], v5, 24, v[4:5]
	v_mov_b32_e32 v9, v4
	global_load_dwordx2 v[4:5], v[8:9], off glc
	s_waitcnt vmcnt(0)
	global_atomic_cmpswap_x2 v[8:9], v3, v[4:7], s[2:3] offset:24 glc
	s_waitcnt vmcnt(0)
	buffer_wbinvl1_vol
	v_cmp_eq_u64_e32 vcc, v[8:9], v[6:7]
	s_or_b64 s[8:9], vcc, s[8:9]
	s_andn2_b64 exec, exec, s[8:9]
	s_cbranch_execnz .LBB4_497
; %bb.498:
	s_or_b64 exec, exec, s[8:9]
.LBB4_499:
	s_or_b64 exec, exec, s[6:7]
.LBB4_500:
	s_or_b64 exec, exec, s[4:5]
	v_mov_b32_e32 v3, 0
	global_load_dwordx2 v[10:11], v3, s[2:3] offset:40
	global_load_dwordx4 v[4:7], v3, s[2:3]
	v_readfirstlane_b32 s5, v9
	v_readfirstlane_b32 s4, v8
	s_mov_b64 s[6:7], exec
	s_waitcnt vmcnt(1)
	v_readfirstlane_b32 s8, v10
	v_readfirstlane_b32 s9, v11
	s_and_b64 s[8:9], s[8:9], s[4:5]
	s_mul_i32 s10, s9, 24
	s_mul_hi_u32 s11, s8, 24
	s_mul_i32 s12, s8, 24
	s_add_i32 s10, s11, s10
	v_mov_b32_e32 v9, s10
	s_waitcnt vmcnt(0)
	v_add_co_u32_e32 v8, vcc, s12, v4
	v_addc_co_u32_e32 v9, vcc, v5, v9, vcc
	s_and_saveexec_b64 s[10:11], s[0:1]
	s_cbranch_execz .LBB4_502
; %bb.501:
	v_mov_b32_e32 v11, s7
	v_mov_b32_e32 v10, s6
	;; [unrolled: 1-line block ×4, first 2 shown]
	global_store_dwordx4 v[8:9], v[10:13], off offset:8
.LBB4_502:
	s_or_b64 exec, exec, s[10:11]
	s_lshl_b64 s[6:7], s[8:9], 12
	v_mov_b32_e32 v10, s7
	v_add_co_u32_e32 v6, vcc, s6, v6
	v_addc_co_u32_e32 v7, vcc, v7, v10, vcc
	s_movk_i32 s6, 0xff1d
	v_and_or_b32 v0, v0, s6, 34
	v_readfirstlane_b32 s6, v6
	v_readfirstlane_b32 s7, v7
	s_mov_b32 s8, 0
	s_mov_b32 s9, s8
	;; [unrolled: 1-line block ×4, first 2 shown]
	s_nop 0
	global_store_dwordx4 v31, v[0:3], s[6:7]
	s_nop 0
	v_mov_b32_e32 v0, s8
	v_mov_b32_e32 v1, s9
	;; [unrolled: 1-line block ×4, first 2 shown]
	global_store_dwordx4 v31, v[0:3], s[6:7] offset:16
	global_store_dwordx4 v31, v[0:3], s[6:7] offset:32
	;; [unrolled: 1-line block ×3, first 2 shown]
	s_and_saveexec_b64 s[6:7], s[0:1]
	s_cbranch_execz .LBB4_510
; %bb.503:
	v_mov_b32_e32 v6, 0
	global_load_dwordx2 v[12:13], v6, s[2:3] offset:32 glc
	global_load_dwordx2 v[0:1], v6, s[2:3] offset:40
	v_mov_b32_e32 v10, s4
	v_mov_b32_e32 v11, s5
	s_waitcnt vmcnt(0)
	v_readfirstlane_b32 s8, v0
	v_readfirstlane_b32 s9, v1
	s_and_b64 s[8:9], s[8:9], s[4:5]
	s_mul_i32 s9, s9, 24
	s_mul_hi_u32 s10, s8, 24
	s_mul_i32 s8, s8, 24
	s_add_i32 s9, s10, s9
	v_mov_b32_e32 v0, s9
	v_add_co_u32_e32 v4, vcc, s8, v4
	v_addc_co_u32_e32 v5, vcc, v5, v0, vcc
	global_store_dwordx2 v[4:5], v[12:13], off
	s_waitcnt vmcnt(0)
	global_atomic_cmpswap_x2 v[2:3], v6, v[10:13], s[2:3] offset:32 glc
	s_waitcnt vmcnt(0)
	v_cmp_ne_u64_e32 vcc, v[2:3], v[12:13]
	s_and_saveexec_b64 s[8:9], vcc
	s_cbranch_execz .LBB4_506
; %bb.504:
	s_mov_b64 s[10:11], 0
.LBB4_505:                              ; =>This Inner Loop Header: Depth=1
	s_sleep 1
	global_store_dwordx2 v[4:5], v[2:3], off
	v_mov_b32_e32 v0, s4
	v_mov_b32_e32 v1, s5
	s_waitcnt vmcnt(0)
	global_atomic_cmpswap_x2 v[0:1], v6, v[0:3], s[2:3] offset:32 glc
	s_waitcnt vmcnt(0)
	v_cmp_eq_u64_e32 vcc, v[0:1], v[2:3]
	v_mov_b32_e32 v3, v1
	s_or_b64 s[10:11], vcc, s[10:11]
	v_mov_b32_e32 v2, v0
	s_andn2_b64 exec, exec, s[10:11]
	s_cbranch_execnz .LBB4_505
.LBB4_506:
	s_or_b64 exec, exec, s[8:9]
	v_mov_b32_e32 v3, 0
	global_load_dwordx2 v[0:1], v3, s[2:3] offset:16
	s_mov_b64 s[8:9], exec
	v_mbcnt_lo_u32_b32 v2, s8, 0
	v_mbcnt_hi_u32_b32 v2, s9, v2
	v_cmp_eq_u32_e32 vcc, 0, v2
	s_and_saveexec_b64 s[10:11], vcc
	s_cbranch_execz .LBB4_508
; %bb.507:
	s_bcnt1_i32_b64 s8, s[8:9]
	v_mov_b32_e32 v2, s8
	s_waitcnt vmcnt(0)
	global_atomic_add_x2 v[0:1], v[2:3], off offset:8
.LBB4_508:
	s_or_b64 exec, exec, s[10:11]
	s_waitcnt vmcnt(0)
	global_load_dwordx2 v[2:3], v[0:1], off offset:16
	s_waitcnt vmcnt(0)
	v_cmp_eq_u64_e32 vcc, 0, v[2:3]
	s_cbranch_vccnz .LBB4_510
; %bb.509:
	global_load_dword v0, v[0:1], off offset:24
	v_mov_b32_e32 v1, 0
	s_waitcnt vmcnt(0)
	v_readfirstlane_b32 s8, v0
	s_and_b32 m0, s8, 0xffffff
	global_store_dwordx2 v[2:3], v[0:1], off
	s_sendmsg sendmsg(MSG_INTERRUPT)
.LBB4_510:
	s_or_b64 exec, exec, s[6:7]
	s_branch .LBB4_514
.LBB4_511:                              ;   in Loop: Header=BB4_514 Depth=1
	s_or_b64 exec, exec, s[6:7]
	v_readfirstlane_b32 s6, v0
	s_cmp_eq_u32 s6, 0
	s_cbranch_scc1 .LBB4_513
; %bb.512:                              ;   in Loop: Header=BB4_514 Depth=1
	s_sleep 1
	s_cbranch_execnz .LBB4_514
	s_branch .LBB4_516
.LBB4_513:
	s_branch .LBB4_516
.LBB4_514:                              ; =>This Inner Loop Header: Depth=1
	v_mov_b32_e32 v0, 1
	s_and_saveexec_b64 s[6:7], s[0:1]
	s_cbranch_execz .LBB4_511
; %bb.515:                              ;   in Loop: Header=BB4_514 Depth=1
	global_load_dword v0, v[8:9], off offset:20 glc
	s_waitcnt vmcnt(0)
	buffer_wbinvl1_vol
	v_and_b32_e32 v0, 1, v0
	s_branch .LBB4_511
.LBB4_516:
	s_and_b64 exec, exec, s[0:1]
	s_cbranch_execz .LBB4_519
; %bb.517:
	v_mov_b32_e32 v6, 0
	global_load_dwordx2 v[0:1], v6, s[2:3] offset:40
	global_load_dwordx2 v[9:10], v6, s[2:3] offset:24 glc
	global_load_dwordx2 v[2:3], v6, s[2:3]
	s_waitcnt vmcnt(2)
	v_readfirstlane_b32 s6, v0
	v_readfirstlane_b32 s7, v1
	s_add_u32 s8, s6, 1
	s_addc_u32 s9, s7, 0
	s_add_u32 s0, s8, s4
	s_addc_u32 s1, s9, s5
	s_cmp_eq_u64 s[0:1], 0
	s_cselect_b32 s1, s9, s1
	s_cselect_b32 s0, s8, s0
	s_and_b64 s[4:5], s[0:1], s[6:7]
	s_mul_i32 s5, s5, 24
	s_mul_hi_u32 s6, s4, 24
	s_mul_i32 s4, s4, 24
	s_add_i32 s5, s6, s5
	v_mov_b32_e32 v0, s5
	s_waitcnt vmcnt(0)
	v_add_co_u32_e32 v4, vcc, s4, v2
	v_addc_co_u32_e32 v5, vcc, v3, v0, vcc
	v_mov_b32_e32 v7, s0
	global_store_dwordx2 v[4:5], v[9:10], off
	v_mov_b32_e32 v8, s1
	s_waitcnt vmcnt(0)
	global_atomic_cmpswap_x2 v[2:3], v6, v[7:10], s[2:3] offset:24 glc
	s_mov_b64 s[4:5], 0
	s_waitcnt vmcnt(0)
	v_cmp_ne_u64_e32 vcc, v[2:3], v[9:10]
	s_and_b64 exec, exec, vcc
	s_cbranch_execz .LBB4_519
.LBB4_518:                              ; =>This Inner Loop Header: Depth=1
	s_sleep 1
	global_store_dwordx2 v[4:5], v[2:3], off
	v_mov_b32_e32 v0, s0
	v_mov_b32_e32 v1, s1
	s_waitcnt vmcnt(0)
	global_atomic_cmpswap_x2 v[0:1], v6, v[0:3], s[2:3] offset:24 glc
	s_waitcnt vmcnt(0)
	v_cmp_eq_u64_e32 vcc, v[0:1], v[2:3]
	v_mov_b32_e32 v3, v1
	s_or_b64 s[4:5], vcc, s[4:5]
	v_mov_b32_e32 v2, v0
	s_andn2_b64 exec, exec, s[4:5]
	s_cbranch_execnz .LBB4_518
.LBB4_519:
	s_endpgm
	.section	.rodata,"a",@progbits
	.p2align	6, 0x0
	.amdhsa_kernel _Z30kernel_coalesced_active_groupsv
		.amdhsa_group_segment_fixed_size 0
		.amdhsa_private_segment_fixed_size 0
		.amdhsa_kernarg_size 256
		.amdhsa_user_sgpr_count 6
		.amdhsa_user_sgpr_private_segment_buffer 1
		.amdhsa_user_sgpr_dispatch_ptr 0
		.amdhsa_user_sgpr_queue_ptr 0
		.amdhsa_user_sgpr_kernarg_segment_ptr 1
		.amdhsa_user_sgpr_dispatch_id 0
		.amdhsa_user_sgpr_flat_scratch_init 0
		.amdhsa_user_sgpr_private_segment_size 0
		.amdhsa_uses_dynamic_stack 0
		.amdhsa_system_sgpr_private_segment_wavefront_offset 0
		.amdhsa_system_sgpr_workgroup_id_x 1
		.amdhsa_system_sgpr_workgroup_id_y 0
		.amdhsa_system_sgpr_workgroup_id_z 0
		.amdhsa_system_sgpr_workgroup_info 0
		.amdhsa_system_vgpr_workitem_id 2
		.amdhsa_next_free_vgpr 33
		.amdhsa_next_free_sgpr 27
		.amdhsa_reserve_vcc 1
		.amdhsa_reserve_flat_scratch 0
		.amdhsa_float_round_mode_32 0
		.amdhsa_float_round_mode_16_64 0
		.amdhsa_float_denorm_mode_32 3
		.amdhsa_float_denorm_mode_16_64 3
		.amdhsa_dx10_clamp 1
		.amdhsa_ieee_mode 1
		.amdhsa_fp16_overflow 0
		.amdhsa_exception_fp_ieee_invalid_op 0
		.amdhsa_exception_fp_denorm_src 0
		.amdhsa_exception_fp_ieee_div_zero 0
		.amdhsa_exception_fp_ieee_overflow 0
		.amdhsa_exception_fp_ieee_underflow 0
		.amdhsa_exception_fp_ieee_inexact 0
		.amdhsa_exception_int_div_zero 0
	.end_amdhsa_kernel
	.text
.Lfunc_end4:
	.size	_Z30kernel_coalesced_active_groupsv, .Lfunc_end4-_Z30kernel_coalesced_active_groupsv
                                        ; -- End function
	.set _Z30kernel_coalesced_active_groupsv.num_vgpr, 33
	.set _Z30kernel_coalesced_active_groupsv.num_agpr, 0
	.set _Z30kernel_coalesced_active_groupsv.numbered_sgpr, 27
	.set _Z30kernel_coalesced_active_groupsv.num_named_barrier, 0
	.set _Z30kernel_coalesced_active_groupsv.private_seg_size, 0
	.set _Z30kernel_coalesced_active_groupsv.uses_vcc, 1
	.set _Z30kernel_coalesced_active_groupsv.uses_flat_scratch, 0
	.set _Z30kernel_coalesced_active_groupsv.has_dyn_sized_stack, 0
	.set _Z30kernel_coalesced_active_groupsv.has_recursion, 0
	.set _Z30kernel_coalesced_active_groupsv.has_indirect_call, 0
	.section	.AMDGPU.csdata,"",@progbits
; Kernel info:
; codeLenInByte = 18636
; TotalNumSgprs: 31
; NumVgprs: 33
; ScratchSize: 0
; MemoryBound: 0
; FloatMode: 240
; IeeeMode: 1
; LDSByteSize: 0 bytes/workgroup (compile time only)
; SGPRBlocks: 3
; VGPRBlocks: 8
; NumSGPRsForWavesPerEU: 31
; NumVGPRsForWavesPerEU: 33
; Occupancy: 7
; WaveLimiterHint : 1
; COMPUTE_PGM_RSRC2:SCRATCH_EN: 0
; COMPUTE_PGM_RSRC2:USER_SGPR: 6
; COMPUTE_PGM_RSRC2:TRAP_HANDLER: 0
; COMPUTE_PGM_RSRC2:TGID_X_EN: 1
; COMPUTE_PGM_RSRC2:TGID_Y_EN: 0
; COMPUTE_PGM_RSRC2:TGID_Z_EN: 0
; COMPUTE_PGM_RSRC2:TIDIG_COMP_CNT: 2
	.section	.AMDGPU.gpr_maximums,"",@progbits
	.set amdgpu.max_num_vgpr, 0
	.set amdgpu.max_num_agpr, 0
	.set amdgpu.max_num_sgpr, 0
	.section	.AMDGPU.csdata,"",@progbits
	.type	.str,@object                    ; @.str
	.section	.rodata.str1.1,"aMS",@progbits,1
.str:
	.asciz	" Sum of all ranks 0..%d in coalesced_group is %d\n\n"
	.size	.str, 51

	.type	.str.1,@object                  ; @.str.1
.str.1:
	.asciz	" Creating %d groups, of tile size %d threads:\n\n"
	.size	.str.1, 48

	.type	.str.2,@object                  ; @.str.2
.str.2:
	.asciz	"   Sum of all ranks 0..%d in this tiledPartition group is %d. Corresponding parent thread rank obtained from meta_group_rank : %d and number of tiles created : %d\n"
	.size	.str.2, 164

	.type	.str.3,@object                  ; @.str.3
.str.3:
	.asciz	" Creating odd and even set of active thread groups based on branch divergence\n\n"
	.size	.str.3, 80

	.type	.str.4,@object                  ; @.str.4
.str.4:
	.asciz	" ODD: Size of odd set of active threads is %d. Corresponding parent thread_rank is %d.\n\n"
	.size	.str.4, 89

	.type	.str.5,@object                  ; @.str.5
.str.5:
	.asciz	" EVEN: Size of even set of active threads is %d. Corresponding parent thread_rank is %d."
	.size	.str.5, 89

	.type	__hip_cuid_725aaa1f6cdeb102,@object ; @__hip_cuid_725aaa1f6cdeb102
	.section	.bss,"aw",@nobits
	.globl	__hip_cuid_725aaa1f6cdeb102
__hip_cuid_725aaa1f6cdeb102:
	.byte	0                               ; 0x0
	.size	__hip_cuid_725aaa1f6cdeb102, 1

	.ident	"AMD clang version 22.0.0git (https://github.com/RadeonOpenCompute/llvm-project roc-7.2.4 26084 f58b06dce1f9c15707c5f808fd002e18c2accf7e)"
	.section	".note.GNU-stack","",@progbits
	.addrsig
	.addrsig_sym __hip_cuid_725aaa1f6cdeb102
	.amdgpu_metadata
---
amdhsa.kernels:
  - .args:
      - .address_space:  global
        .offset:         0
        .size:           8
        .value_kind:     global_buffer
      - .address_space:  global
        .offset:         8
        .size:           8
        .value_kind:     global_buffer
      - .offset:         16
        .size:           4
        .value_kind:     by_value
      - .offset:         20
        .size:           4
        .value_kind:     by_value
      - .offset:         24
        .size:           4
        .value_kind:     hidden_block_count_x
      - .offset:         28
        .size:           4
        .value_kind:     hidden_block_count_y
      - .offset:         32
        .size:           4
        .value_kind:     hidden_block_count_z
      - .offset:         36
        .size:           2
        .value_kind:     hidden_group_size_x
      - .offset:         38
        .size:           2
        .value_kind:     hidden_group_size_y
      - .offset:         40
        .size:           2
        .value_kind:     hidden_group_size_z
      - .offset:         42
        .size:           2
        .value_kind:     hidden_remainder_x
      - .offset:         44
        .size:           2
        .value_kind:     hidden_remainder_y
      - .offset:         46
        .size:           2
        .value_kind:     hidden_remainder_z
      - .offset:         64
        .size:           8
        .value_kind:     hidden_global_offset_x
      - .offset:         72
        .size:           8
        .value_kind:     hidden_global_offset_y
      - .offset:         80
        .size:           8
        .value_kind:     hidden_global_offset_z
      - .offset:         88
        .size:           2
        .value_kind:     hidden_grid_dims
    .group_segment_fixed_size: 0
    .kernarg_segment_align: 8
    .kernarg_segment_size: 280
    .language:       OpenCL C
    .language_version:
      - 2
      - 0
    .max_flat_workgroup_size: 1024
    .name:           _Z11kernel_shflPiS_ii
    .private_segment_fixed_size: 0
    .sgpr_count:     14
    .sgpr_spill_count: 0
    .symbol:         _Z11kernel_shflPiS_ii.kd
    .uniform_work_group_size: 1
    .uses_dynamic_stack: false
    .vgpr_count:     4
    .vgpr_spill_count: 0
    .wavefront_size: 64
  - .args:
      - .address_space:  global
        .offset:         0
        .size:           8
        .value_kind:     global_buffer
      - .address_space:  global
        .offset:         8
        .size:           8
        .value_kind:     global_buffer
      - .address_space:  global
        .offset:         16
        .size:           8
        .value_kind:     global_buffer
      - .offset:         24
        .size:           4
        .value_kind:     by_value
      - .offset:         32
        .size:           4
        .value_kind:     hidden_block_count_x
      - .offset:         36
        .size:           4
        .value_kind:     hidden_block_count_y
      - .offset:         40
        .size:           4
        .value_kind:     hidden_block_count_z
      - .offset:         44
        .size:           2
        .value_kind:     hidden_group_size_x
      - .offset:         46
        .size:           2
        .value_kind:     hidden_group_size_y
      - .offset:         48
        .size:           2
        .value_kind:     hidden_group_size_z
      - .offset:         50
        .size:           2
        .value_kind:     hidden_remainder_x
      - .offset:         52
        .size:           2
        .value_kind:     hidden_remainder_y
      - .offset:         54
        .size:           2
        .value_kind:     hidden_remainder_z
      - .offset:         72
        .size:           8
        .value_kind:     hidden_global_offset_x
      - .offset:         80
        .size:           8
        .value_kind:     hidden_global_offset_y
      - .offset:         88
        .size:           8
        .value_kind:     hidden_global_offset_z
      - .offset:         96
        .size:           2
        .value_kind:     hidden_grid_dims
    .group_segment_fixed_size: 0
    .kernarg_segment_align: 8
    .kernarg_segment_size: 288
    .language:       OpenCL C
    .language_version:
      - 2
      - 0
    .max_flat_workgroup_size: 1024
    .name:           _Z22kernel_shfl_any_to_anyPiS_S_i
    .private_segment_fixed_size: 0
    .sgpr_count:     16
    .sgpr_spill_count: 0
    .symbol:         _Z22kernel_shfl_any_to_anyPiS_S_i.kd
    .uniform_work_group_size: 1
    .uses_dynamic_stack: false
    .vgpr_count:     9
    .vgpr_spill_count: 0
    .wavefront_size: 64
  - .args:
      - .address_space:  global
        .offset:         0
        .size:           8
        .value_kind:     global_buffer
      - .address_space:  global
        .offset:         8
        .size:           8
        .value_kind:     global_buffer
      - .address_space:  global
        .offset:         16
        .size:           8
        .value_kind:     global_buffer
      - .offset:         24
        .size:           4
        .value_kind:     by_value
      - .offset:         32
        .size:           4
        .value_kind:     hidden_block_count_x
      - .offset:         36
        .size:           4
        .value_kind:     hidden_block_count_y
      - .offset:         40
        .size:           4
        .value_kind:     hidden_block_count_z
      - .offset:         44
        .size:           2
        .value_kind:     hidden_group_size_x
      - .offset:         46
        .size:           2
        .value_kind:     hidden_group_size_y
      - .offset:         48
        .size:           2
        .value_kind:     hidden_group_size_z
      - .offset:         50
        .size:           2
        .value_kind:     hidden_remainder_x
      - .offset:         52
        .size:           2
        .value_kind:     hidden_remainder_y
      - .offset:         54
        .size:           2
        .value_kind:     hidden_remainder_z
      - .offset:         72
        .size:           8
        .value_kind:     hidden_global_offset_x
      - .offset:         80
        .size:           8
        .value_kind:     hidden_global_offset_y
      - .offset:         88
        .size:           8
        .value_kind:     hidden_global_offset_z
      - .offset:         96
        .size:           2
        .value_kind:     hidden_grid_dims
    .group_segment_fixed_size: 0
    .kernarg_segment_align: 8
    .kernarg_segment_size: 288
    .language:       OpenCL C
    .language_version:
      - 2
      - 0
    .max_flat_workgroup_size: 1024
    .name:           _Z10filter_arrPiS_PKii
    .private_segment_fixed_size: 0
    .sgpr_count:     26
    .sgpr_spill_count: 0
    .symbol:         _Z10filter_arrPiS_PKii.kd
    .uniform_work_group_size: 1
    .uses_dynamic_stack: false
    .vgpr_count:     8
    .vgpr_spill_count: 0
    .wavefront_size: 64
  - .args:
      - .offset:         0
        .size:           4
        .value_kind:     by_value
      - .address_space:  global
        .offset:         8
        .size:           8
        .value_kind:     global_buffer
      - .offset:         16
        .size:           1
        .value_kind:     by_value
      - .address_space:  global
        .offset:         24
        .size:           8
        .value_kind:     global_buffer
      - .offset:         32
        .size:           4
        .value_kind:     by_value
      - .offset:         40
        .size:           4
        .value_kind:     hidden_block_count_x
      - .offset:         44
        .size:           4
        .value_kind:     hidden_block_count_y
      - .offset:         48
        .size:           4
        .value_kind:     hidden_block_count_z
      - .offset:         52
        .size:           2
        .value_kind:     hidden_group_size_x
      - .offset:         54
        .size:           2
        .value_kind:     hidden_group_size_y
      - .offset:         56
        .size:           2
        .value_kind:     hidden_group_size_z
      - .offset:         58
        .size:           2
        .value_kind:     hidden_remainder_x
      - .offset:         60
        .size:           2
        .value_kind:     hidden_remainder_y
      - .offset:         62
        .size:           2
        .value_kind:     hidden_remainder_z
      - .offset:         80
        .size:           8
        .value_kind:     hidden_global_offset_x
      - .offset:         88
        .size:           8
        .value_kind:     hidden_global_offset_y
      - .offset:         96
        .size:           8
        .value_kind:     hidden_global_offset_z
      - .offset:         104
        .size:           2
        .value_kind:     hidden_grid_dims
      - .offset:         120
        .size:           8
        .value_kind:     hidden_hostcall_buffer
      - .offset:         160
        .size:           4
        .value_kind:     hidden_dynamic_lds_size
    .group_segment_fixed_size: 0
    .kernarg_segment_align: 8
    .kernarg_segment_size: 296
    .language:       OpenCL C
    .language_version:
      - 2
      - 0
    .max_flat_workgroup_size: 1024
    .name:           _Z35kernel_cg_coalesced_group_partitionjPibS_i
    .private_segment_fixed_size: 0
    .sgpr_count:     38
    .sgpr_spill_count: 0
    .symbol:         _Z35kernel_cg_coalesced_group_partitionjPibS_i.kd
    .uniform_work_group_size: 1
    .uses_dynamic_stack: false
    .vgpr_count:     37
    .vgpr_spill_count: 0
    .wavefront_size: 64
  - .args:
      - .offset:         0
        .size:           4
        .value_kind:     hidden_block_count_x
      - .offset:         4
        .size:           4
        .value_kind:     hidden_block_count_y
      - .offset:         8
        .size:           4
        .value_kind:     hidden_block_count_z
      - .offset:         12
        .size:           2
        .value_kind:     hidden_group_size_x
      - .offset:         14
        .size:           2
        .value_kind:     hidden_group_size_y
      - .offset:         16
        .size:           2
        .value_kind:     hidden_group_size_z
      - .offset:         18
        .size:           2
        .value_kind:     hidden_remainder_x
      - .offset:         20
        .size:           2
        .value_kind:     hidden_remainder_y
      - .offset:         22
        .size:           2
        .value_kind:     hidden_remainder_z
      - .offset:         40
        .size:           8
        .value_kind:     hidden_global_offset_x
      - .offset:         48
        .size:           8
        .value_kind:     hidden_global_offset_y
      - .offset:         56
        .size:           8
        .value_kind:     hidden_global_offset_z
      - .offset:         64
        .size:           2
        .value_kind:     hidden_grid_dims
      - .offset:         80
        .size:           8
        .value_kind:     hidden_hostcall_buffer
    .group_segment_fixed_size: 0
    .kernarg_segment_align: 8
    .kernarg_segment_size: 256
    .language:       OpenCL C
    .language_version:
      - 2
      - 0
    .max_flat_workgroup_size: 1024
    .name:           _Z30kernel_coalesced_active_groupsv
    .private_segment_fixed_size: 0
    .sgpr_count:     31
    .sgpr_spill_count: 0
    .symbol:         _Z30kernel_coalesced_active_groupsv.kd
    .uniform_work_group_size: 1
    .uses_dynamic_stack: false
    .vgpr_count:     33
    .vgpr_spill_count: 0
    .wavefront_size: 64
amdhsa.target:   amdgcn-amd-amdhsa--gfx906
amdhsa.version:
  - 1
  - 2
...

	.end_amdgpu_metadata
